;; amdgpu-corpus repo=ROCm/rocFFT kind=compiled arch=gfx1030 opt=O3
	.text
	.amdgcn_target "amdgcn-amd-amdhsa--gfx1030"
	.amdhsa_code_object_version 6
	.protected	fft_rtc_fwd_len1248_factors_2_2_13_2_3_2_2_wgs_52_tpt_52_halfLds_dp_ip_CI_sbrr_dirReg ; -- Begin function fft_rtc_fwd_len1248_factors_2_2_13_2_3_2_2_wgs_52_tpt_52_halfLds_dp_ip_CI_sbrr_dirReg
	.globl	fft_rtc_fwd_len1248_factors_2_2_13_2_3_2_2_wgs_52_tpt_52_halfLds_dp_ip_CI_sbrr_dirReg
	.p2align	8
	.type	fft_rtc_fwd_len1248_factors_2_2_13_2_3_2_2_wgs_52_tpt_52_halfLds_dp_ip_CI_sbrr_dirReg,@function
fft_rtc_fwd_len1248_factors_2_2_13_2_3_2_2_wgs_52_tpt_52_halfLds_dp_ip_CI_sbrr_dirReg: ; @fft_rtc_fwd_len1248_factors_2_2_13_2_3_2_2_wgs_52_tpt_52_halfLds_dp_ip_CI_sbrr_dirReg
; %bb.0:
	s_clause 0x2
	s_load_dwordx2 s[14:15], s[4:5], 0x18
	s_load_dwordx4 s[8:11], s[4:5], 0x0
	s_load_dwordx2 s[12:13], s[4:5], 0x50
	s_mov_b64 s[50:51], s[2:3]
	s_mov_b64 s[48:49], s[0:1]
	v_mul_u32_u24_e32 v1, 0x4ed, v0
	v_mov_b32_e32 v3, 0
	s_add_u32 s48, s48, s7
	s_addc_u32 s49, s49, 0
	v_add_nc_u32_sdwa v5, s6, v1 dst_sel:DWORD dst_unused:UNUSED_PAD src0_sel:DWORD src1_sel:WORD_1
	v_mov_b32_e32 v1, 0
	v_mov_b32_e32 v6, v3
	;; [unrolled: 1-line block ×3, first 2 shown]
	s_waitcnt lgkmcnt(0)
	s_load_dwordx2 s[2:3], s[14:15], 0x0
	v_cmp_lt_u64_e64 s0, s[10:11], 2
	s_and_b32 vcc_lo, exec_lo, s0
	s_cbranch_vccnz .LBB0_8
; %bb.1:
	s_load_dwordx2 s[0:1], s[4:5], 0x10
	v_mov_b32_e32 v1, 0
	s_add_u32 s6, s14, 8
	v_mov_b32_e32 v2, 0
	s_addc_u32 s7, s15, 0
	s_mov_b64 s[18:19], 1
	s_waitcnt lgkmcnt(0)
	s_add_u32 s16, s0, 8
	s_addc_u32 s17, s1, 0
.LBB0_2:                                ; =>This Inner Loop Header: Depth=1
	s_load_dwordx2 s[20:21], s[16:17], 0x0
                                        ; implicit-def: $vgpr7_vgpr8
	s_mov_b32 s0, exec_lo
	s_waitcnt lgkmcnt(0)
	v_or_b32_e32 v4, s21, v6
	v_cmpx_ne_u64_e32 0, v[3:4]
	s_xor_b32 s1, exec_lo, s0
	s_cbranch_execz .LBB0_4
; %bb.3:                                ;   in Loop: Header=BB0_2 Depth=1
	v_cvt_f32_u32_e32 v4, s20
	v_cvt_f32_u32_e32 v7, s21
	s_sub_u32 s0, 0, s20
	s_subb_u32 s22, 0, s21
	v_fmac_f32_e32 v4, 0x4f800000, v7
	v_rcp_f32_e32 v4, v4
	v_mul_f32_e32 v4, 0x5f7ffffc, v4
	v_mul_f32_e32 v7, 0x2f800000, v4
	v_trunc_f32_e32 v7, v7
	v_fmac_f32_e32 v4, 0xcf800000, v7
	v_cvt_u32_f32_e32 v7, v7
	v_cvt_u32_f32_e32 v4, v4
	v_mul_lo_u32 v8, s0, v7
	v_mul_hi_u32 v9, s0, v4
	v_mul_lo_u32 v10, s22, v4
	v_add_nc_u32_e32 v8, v9, v8
	v_mul_lo_u32 v9, s0, v4
	v_add_nc_u32_e32 v8, v8, v10
	v_mul_hi_u32 v10, v4, v9
	v_mul_lo_u32 v11, v4, v8
	v_mul_hi_u32 v12, v4, v8
	v_mul_hi_u32 v13, v7, v9
	v_mul_lo_u32 v9, v7, v9
	v_mul_hi_u32 v14, v7, v8
	v_mul_lo_u32 v8, v7, v8
	v_add_co_u32 v10, vcc_lo, v10, v11
	v_add_co_ci_u32_e32 v11, vcc_lo, 0, v12, vcc_lo
	v_add_co_u32 v9, vcc_lo, v10, v9
	v_add_co_ci_u32_e32 v9, vcc_lo, v11, v13, vcc_lo
	v_add_co_ci_u32_e32 v10, vcc_lo, 0, v14, vcc_lo
	v_add_co_u32 v8, vcc_lo, v9, v8
	v_add_co_ci_u32_e32 v9, vcc_lo, 0, v10, vcc_lo
	v_add_co_u32 v4, vcc_lo, v4, v8
	v_add_co_ci_u32_e32 v7, vcc_lo, v7, v9, vcc_lo
	v_mul_hi_u32 v8, s0, v4
	v_mul_lo_u32 v10, s22, v4
	v_mul_lo_u32 v9, s0, v7
	v_add_nc_u32_e32 v8, v8, v9
	v_mul_lo_u32 v9, s0, v4
	v_add_nc_u32_e32 v8, v8, v10
	v_mul_hi_u32 v10, v4, v9
	v_mul_lo_u32 v11, v4, v8
	v_mul_hi_u32 v12, v4, v8
	v_mul_hi_u32 v13, v7, v9
	v_mul_lo_u32 v9, v7, v9
	v_mul_hi_u32 v14, v7, v8
	v_mul_lo_u32 v8, v7, v8
	v_add_co_u32 v10, vcc_lo, v10, v11
	v_add_co_ci_u32_e32 v11, vcc_lo, 0, v12, vcc_lo
	v_add_co_u32 v9, vcc_lo, v10, v9
	v_add_co_ci_u32_e32 v9, vcc_lo, v11, v13, vcc_lo
	v_add_co_ci_u32_e32 v10, vcc_lo, 0, v14, vcc_lo
	v_add_co_u32 v8, vcc_lo, v9, v8
	v_add_co_ci_u32_e32 v9, vcc_lo, 0, v10, vcc_lo
	v_add_co_u32 v4, vcc_lo, v4, v8
	v_add_co_ci_u32_e32 v11, vcc_lo, v7, v9, vcc_lo
	v_mul_hi_u32 v13, v5, v4
	v_mad_u64_u32 v[9:10], null, v6, v4, 0
	v_mad_u64_u32 v[7:8], null, v5, v11, 0
	v_mad_u64_u32 v[11:12], null, v6, v11, 0
	v_add_co_u32 v4, vcc_lo, v13, v7
	v_add_co_ci_u32_e32 v7, vcc_lo, 0, v8, vcc_lo
	v_add_co_u32 v4, vcc_lo, v4, v9
	v_add_co_ci_u32_e32 v4, vcc_lo, v7, v10, vcc_lo
	v_add_co_ci_u32_e32 v7, vcc_lo, 0, v12, vcc_lo
	v_add_co_u32 v4, vcc_lo, v4, v11
	v_add_co_ci_u32_e32 v9, vcc_lo, 0, v7, vcc_lo
	v_mul_lo_u32 v10, s21, v4
	v_mad_u64_u32 v[7:8], null, s20, v4, 0
	v_mul_lo_u32 v11, s20, v9
	v_sub_co_u32 v7, vcc_lo, v5, v7
	v_add3_u32 v8, v8, v11, v10
	v_sub_nc_u32_e32 v10, v6, v8
	v_subrev_co_ci_u32_e64 v10, s0, s21, v10, vcc_lo
	v_add_co_u32 v11, s0, v4, 2
	v_add_co_ci_u32_e64 v12, s0, 0, v9, s0
	v_sub_co_u32 v13, s0, v7, s20
	v_sub_co_ci_u32_e32 v8, vcc_lo, v6, v8, vcc_lo
	v_subrev_co_ci_u32_e64 v10, s0, 0, v10, s0
	v_cmp_le_u32_e32 vcc_lo, s20, v13
	v_cmp_eq_u32_e64 s0, s21, v8
	v_cndmask_b32_e64 v13, 0, -1, vcc_lo
	v_cmp_le_u32_e32 vcc_lo, s21, v10
	v_cndmask_b32_e64 v14, 0, -1, vcc_lo
	v_cmp_le_u32_e32 vcc_lo, s20, v7
	;; [unrolled: 2-line block ×3, first 2 shown]
	v_cndmask_b32_e64 v15, 0, -1, vcc_lo
	v_cmp_eq_u32_e32 vcc_lo, s21, v10
	v_cndmask_b32_e64 v7, v15, v7, s0
	v_cndmask_b32_e32 v10, v14, v13, vcc_lo
	v_add_co_u32 v13, vcc_lo, v4, 1
	v_add_co_ci_u32_e32 v14, vcc_lo, 0, v9, vcc_lo
	v_cmp_ne_u32_e32 vcc_lo, 0, v10
	v_cndmask_b32_e32 v8, v14, v12, vcc_lo
	v_cndmask_b32_e32 v10, v13, v11, vcc_lo
	v_cmp_ne_u32_e32 vcc_lo, 0, v7
	v_cndmask_b32_e32 v8, v9, v8, vcc_lo
	v_cndmask_b32_e32 v7, v4, v10, vcc_lo
.LBB0_4:                                ;   in Loop: Header=BB0_2 Depth=1
	s_andn2_saveexec_b32 s0, s1
	s_cbranch_execz .LBB0_6
; %bb.5:                                ;   in Loop: Header=BB0_2 Depth=1
	v_cvt_f32_u32_e32 v4, s20
	s_sub_i32 s1, 0, s20
	v_rcp_iflag_f32_e32 v4, v4
	v_mul_f32_e32 v4, 0x4f7ffffe, v4
	v_cvt_u32_f32_e32 v4, v4
	v_mul_lo_u32 v7, s1, v4
	v_mul_hi_u32 v7, v4, v7
	v_add_nc_u32_e32 v4, v4, v7
	v_mul_hi_u32 v4, v5, v4
	v_mul_lo_u32 v7, v4, s20
	v_add_nc_u32_e32 v8, 1, v4
	v_sub_nc_u32_e32 v7, v5, v7
	v_subrev_nc_u32_e32 v9, s20, v7
	v_cmp_le_u32_e32 vcc_lo, s20, v7
	v_cndmask_b32_e32 v7, v7, v9, vcc_lo
	v_cndmask_b32_e32 v4, v4, v8, vcc_lo
	v_cmp_le_u32_e32 vcc_lo, s20, v7
	v_add_nc_u32_e32 v8, 1, v4
	v_cndmask_b32_e32 v7, v4, v8, vcc_lo
	v_mov_b32_e32 v8, v3
.LBB0_6:                                ;   in Loop: Header=BB0_2 Depth=1
	s_or_b32 exec_lo, exec_lo, s0
	s_load_dwordx2 s[0:1], s[6:7], 0x0
	v_mul_lo_u32 v4, v8, s20
	v_mul_lo_u32 v11, v7, s21
	v_mad_u64_u32 v[9:10], null, v7, s20, 0
	s_add_u32 s18, s18, 1
	s_addc_u32 s19, s19, 0
	s_add_u32 s6, s6, 8
	s_addc_u32 s7, s7, 0
	;; [unrolled: 2-line block ×3, first 2 shown]
	v_add3_u32 v4, v10, v11, v4
	v_sub_co_u32 v5, vcc_lo, v5, v9
	v_sub_co_ci_u32_e32 v4, vcc_lo, v6, v4, vcc_lo
	s_waitcnt lgkmcnt(0)
	v_mul_lo_u32 v6, s1, v5
	v_mul_lo_u32 v4, s0, v4
	v_mad_u64_u32 v[1:2], null, s0, v5, v[1:2]
	v_cmp_ge_u64_e64 s0, s[18:19], s[10:11]
	s_and_b32 vcc_lo, exec_lo, s0
	v_add3_u32 v2, v6, v2, v4
	s_cbranch_vccnz .LBB0_9
; %bb.7:                                ;   in Loop: Header=BB0_2 Depth=1
	v_mov_b32_e32 v5, v7
	v_mov_b32_e32 v6, v8
	s_branch .LBB0_2
.LBB0_8:
	v_mov_b32_e32 v8, v6
	v_mov_b32_e32 v7, v5
.LBB0_9:
	s_lshl_b64 s[0:1], s[10:11], 3
	v_mul_hi_u32 v3, 0x4ec4ec5, v0
	s_add_u32 s0, s14, s0
	s_addc_u32 s1, s15, s1
	s_load_dwordx2 s[4:5], s[4:5], 0x20
	s_load_dwordx2 s[0:1], s[0:1], 0x0
                                        ; implicit-def: $vgpr120
                                        ; implicit-def: $vgpr118
                                        ; implicit-def: $vgpr116
                                        ; implicit-def: $vgpr114
                                        ; implicit-def: $vgpr112
                                        ; implicit-def: $vgpr104
                                        ; implicit-def: $vgpr105
                                        ; implicit-def: $vgpr106
                                        ; implicit-def: $vgpr107
                                        ; implicit-def: $vgpr109
                                        ; implicit-def: $vgpr111
	v_mul_u32_u24_e32 v3, 52, v3
	v_sub_nc_u32_e32 v100, v0, v3
	v_add_nc_u32_e32 v186, 52, v100
	v_add_nc_u32_e32 v185, 0x68, v100
	;; [unrolled: 1-line block ×5, first 2 shown]
	s_waitcnt lgkmcnt(0)
	v_cmp_gt_u64_e32 vcc_lo, s[4:5], v[7:8]
	v_mul_lo_u32 v3, s0, v8
	v_mul_lo_u32 v4, s1, v7
	v_mad_u64_u32 v[0:1], null, s0, v7, v[1:2]
	v_cmp_le_u64_e64 s0, s[4:5], v[7:8]
	v_add_nc_u32_e32 v184, 0x138, v100
	v_add_nc_u32_e32 v182, 0x16c, v100
	;; [unrolled: 1-line block ×5, first 2 shown]
	v_add3_u32 v1, v4, v1, v3
	v_add_nc_u32_e32 v176, 0x23c, v100
	s_and_saveexec_b32 s1, s0
	s_xor_b32 s0, exec_lo, s1
; %bb.10:
	v_add_nc_u32_e32 v120, 52, v100
	v_add_nc_u32_e32 v118, 0x68, v100
	;; [unrolled: 1-line block ×11, first 2 shown]
; %bb.11:
	s_or_saveexec_b32 s1, s0
	v_lshlrev_b64 v[102:103], 4, v[0:1]
	v_add_nc_u32_e32 v0, 0x30c, v100
	v_add_nc_u32_e32 v195, 0x270, v100
	v_add_nc_u32_e32 v194, 0x2a4, v100
	v_add_nc_u32_e32 v193, 0x2d8, v100
	v_or_b32_e32 v255, 0x340, v100
	buffer_store_dword v0, off, s[48:51], 0 offset:16 ; 4-byte Folded Spill
	v_add_nc_u32_e32 v0, 0x374, v100
                                        ; implicit-def: $vgpr58_vgpr59
                                        ; implicit-def: $vgpr22_vgpr23
                                        ; implicit-def: $vgpr62_vgpr63
                                        ; implicit-def: $vgpr26_vgpr27
                                        ; implicit-def: $vgpr66_vgpr67
                                        ; implicit-def: $vgpr34_vgpr35
                                        ; implicit-def: $vgpr70_vgpr71
                                        ; implicit-def: $vgpr38_vgpr39
                                        ; implicit-def: $vgpr74_vgpr75
                                        ; implicit-def: $vgpr42_vgpr43
                                        ; implicit-def: $vgpr86_vgpr87
                                        ; implicit-def: $vgpr46_vgpr47
                                        ; implicit-def: $vgpr90_vgpr91
                                        ; implicit-def: $vgpr50_vgpr51
                                        ; implicit-def: $vgpr94_vgpr95
                                        ; implicit-def: $vgpr54_vgpr55
                                        ; implicit-def: $vgpr78_vgpr79
                                        ; implicit-def: $vgpr30_vgpr31
                                        ; implicit-def: $vgpr82_vgpr83
                                        ; implicit-def: $vgpr18_vgpr19
                                        ; implicit-def: $vgpr6_vgpr7
                                        ; implicit-def: $vgpr2_vgpr3
                                        ; implicit-def: $vgpr14_vgpr15
                                        ; implicit-def: $vgpr10_vgpr11
	buffer_store_dword v0, off, s[48:51], 0 offset:12 ; 4-byte Folded Spill
	v_add_nc_u32_e32 v0, 0x3a8, v100
	buffer_store_dword v0, off, s[48:51], 0 offset:8 ; 4-byte Folded Spill
	v_add_nc_u32_e32 v0, 0x3dc, v100
	;; [unrolled: 2-line block ×3, first 2 shown]
	buffer_store_dword v0, off, s[48:51], 0 ; 4-byte Folded Spill
	s_xor_b32 exec_lo, exec_lo, s1
	s_cbranch_execz .LBB0_13
; %bb.12:
	v_mad_u64_u32 v[0:1], null, s2, v100, 0
	v_mad_u64_u32 v[2:3], null, s2, v195, 0
	;; [unrolled: 1-line block ×9, first 2 shown]
	v_mov_b32_e32 v1, v8
	v_mad_u64_u32 v[7:8], null, s3, v194, v[7:8]
	v_mov_b32_e32 v8, v17
	v_mov_b32_e32 v3, v9
	v_lshlrev_b64 v[0:1], 4, v[0:1]
	v_add_nc_u32_e32 v29, 0x30c, v100
	v_add_co_u32 v20, s0, s12, v102
	v_mad_u64_u32 v[8:9], null, s3, v185, v[8:9]
	v_mov_b32_e32 v9, v19
	v_mov_b32_e32 v5, v10
	v_add_co_ci_u32_e64 v21, s0, s13, v103, s0
	v_lshlrev_b64 v[2:3], 4, v[2:3]
	v_mad_u64_u32 v[24:25], null, s3, v193, v[9:10]
	v_mad_u64_u32 v[22:23], null, s2, v183, 0
	;; [unrolled: 1-line block ×3, first 2 shown]
	v_add_co_u32 v0, s0, v20, v0
	v_lshlrev_b64 v[4:5], 4, v[4:5]
	v_mov_b32_e32 v17, v8
	v_add_co_ci_u32_e64 v1, s0, v21, v1, s0
	v_add_co_u32 v2, s0, v20, v2
	v_lshlrev_b64 v[6:7], 4, v[6:7]
	v_mov_b32_e32 v19, v24
	v_add_co_ci_u32_e64 v3, s0, v21, v3, s0
	v_add_co_u32 v4, s0, v20, v4
	v_lshlrev_b64 v[16:17], 4, v[16:17]
	v_mad_u64_u32 v[23:24], null, s3, v183, v[23:24]
	v_mov_b32_e32 v24, v26
	v_add_co_ci_u32_e64 v5, s0, v21, v5, s0
	v_add_co_u32 v6, s0, v20, v6
	v_lshlrev_b64 v[18:19], 4, v[18:19]
	v_add_co_ci_u32_e64 v7, s0, v21, v7, s0
	v_add_co_u32 v16, s0, v20, v16
	v_mad_u64_u32 v[29:30], null, s3, v29, v[24:25]
	v_add_co_ci_u32_e64 v17, s0, v21, v17, s0
	v_mad_u64_u32 v[27:28], null, s2, v181, 0
	v_add_co_u32 v30, s0, v20, v18
	v_add_co_ci_u32_e64 v31, s0, v21, v19, s0
	v_lshlrev_b64 v[18:19], 4, v[22:23]
	v_mad_u64_u32 v[23:24], null, s2, v255, 0
	v_mov_b32_e32 v26, v29
	v_mov_b32_e32 v22, v28
	v_add_nc_u32_e32 v41, 0x374, v100
	v_add_co_u32 v32, s0, v20, v18
	v_add_co_ci_u32_e64 v33, s0, v21, v19, s0
	v_lshlrev_b64 v[18:19], 4, v[25:26]
	v_mad_u64_u32 v[25:26], null, s2, v180, 0
	v_mad_u64_u32 v[28:29], null, s3, v181, v[22:23]
	v_mov_b32_e32 v22, v24
	v_mad_u64_u32 v[39:40], null, s2, v184, 0
	v_mad_u64_u32 v[48:49], null, s2, v179, 0
	;; [unrolled: 1-line block ×3, first 2 shown]
	v_add_co_u32 v35, s0, v20, v18
	v_mov_b32_e32 v18, v26
	v_lshlrev_b64 v[26:27], 4, v[27:28]
	v_mad_u64_u32 v[28:29], null, s2, v41, 0
	v_add_co_ci_u32_e64 v36, s0, v21, v19, s0
	v_mad_u64_u32 v[18:19], null, s3, v180, v[18:19]
	v_mov_b32_e32 v24, v34
	v_add_co_u32 v37, s0, v20, v26
	v_mov_b32_e32 v19, v29
	v_add_nc_u32_e32 v34, 0x3a8, v100
	v_add_co_ci_u32_e64 v38, s0, v21, v27, s0
	v_mov_b32_e32 v26, v18
	v_mad_u64_u32 v[18:19], null, s3, v41, v[19:20]
	v_lshlrev_b64 v[22:23], 4, v[23:24]
	v_mov_b32_e32 v19, v40
	v_lshlrev_b64 v[24:25], 4, v[25:26]
	v_mad_u64_u32 v[26:27], null, s2, v34, 0
	v_mad_u64_u32 v[41:42], null, s2, v182, 0
	v_mov_b32_e32 v29, v18
	v_mad_u64_u32 v[18:19], null, s3, v184, v[19:20]
	v_add_co_u32 v22, s0, v20, v22
	v_mov_b32_e32 v19, v27
	v_lshlrev_b64 v[27:28], 4, v[28:29]
	v_add_co_ci_u32_e64 v23, s0, v21, v23, s0
	v_add_co_u32 v24, s0, v20, v24
	v_mad_u64_u32 v[43:44], null, s3, v34, v[19:20]
	v_mov_b32_e32 v40, v18
	v_add_nc_u32_e32 v34, 0x3dc, v100
	v_add_co_ci_u32_e64 v25, s0, v21, v25, s0
	v_add_co_u32 v44, s0, v20, v27
	v_add_co_ci_u32_e64 v45, s0, v21, v28, s0
	v_lshlrev_b64 v[18:19], 4, v[39:40]
	v_mov_b32_e32 v28, v42
	v_mad_u64_u32 v[39:40], null, s2, v34, 0
	v_mov_b32_e32 v27, v43
	v_add_nc_u32_e32 v43, 0x4ac, v100
	v_mad_u64_u32 v[28:29], null, s3, v182, v[28:29]
	v_add_co_u32 v46, s0, v20, v18
	v_add_co_ci_u32_e64 v47, s0, v21, v19, s0
	v_lshlrev_b64 v[18:19], 4, v[26:27]
	v_mov_b32_e32 v26, v40
	v_mov_b32_e32 v42, v28
	v_mad_u64_u32 v[50:51], null, s2, v176, 0
	v_mad_u64_u32 v[52:53], null, s2, v43, 0
	;; [unrolled: 1-line block ×3, first 2 shown]
	v_add_nc_u32_e32 v34, 0x410, v100
	v_add_co_u32 v56, s0, v20, v18
	v_mov_b32_e32 v18, v49
	v_lshlrev_b64 v[27:28], 4, v[41:42]
	v_mad_u64_u32 v[41:42], null, s2, v34, 0
	v_add_co_ci_u32_e64 v57, s0, v21, v19, s0
	v_mad_u64_u32 v[18:19], null, s3, v179, v[18:19]
	v_mov_b32_e32 v40, v26
	v_add_co_u32 v26, s0, v20, v27
	v_mov_b32_e32 v19, v42
	v_add_co_ci_u32_e64 v27, s0, v21, v28, s0
	v_lshlrev_b64 v[28:29], 4, v[39:40]
	v_mad_u64_u32 v[39:40], null, s2, v178, 0
	v_mov_b32_e32 v49, v18
	v_mad_u64_u32 v[18:19], null, s3, v34, v[19:20]
	v_add_nc_u32_e32 v34, 0x444, v100
	v_add_co_u32 v58, s0, v20, v28
	v_add_co_ci_u32_e64 v59, s0, v21, v29, s0
	v_lshlrev_b64 v[28:29], 4, v[48:49]
	v_mov_b32_e32 v19, v40
	v_mad_u64_u32 v[48:49], null, s2, v34, 0
	v_mov_b32_e32 v42, v18
	s_clause 0x3
	global_load_dwordx4 v[8:11], v[0:1], off
	global_load_dwordx4 v[12:15], v[2:3], off
	;; [unrolled: 1-line block ×4, first 2 shown]
	v_mad_u64_u32 v[18:19], null, s3, v178, v[19:20]
	v_add_co_u32 v60, s0, v20, v28
	v_add_co_ci_u32_e64 v61, s0, v21, v29, s0
	v_lshlrev_b64 v[28:29], 4, v[41:42]
	v_mov_b32_e32 v19, v49
	v_mad_u64_u32 v[41:42], null, s2, v177, 0
	v_mov_b32_e32 v40, v18
	v_mov_b32_e32 v111, v176
	v_mad_u64_u32 v[18:19], null, s3, v34, v[19:20]
	v_add_nc_u32_e32 v34, 0x478, v100
	v_add_co_u32 v62, s0, v20, v28
	v_mov_b32_e32 v19, v42
	v_add_co_ci_u32_e64 v63, s0, v21, v29, s0
	v_lshlrev_b64 v[28:29], 4, v[39:40]
	v_mad_u64_u32 v[39:40], null, s2, v34, 0
	v_mov_b32_e32 v49, v18
	v_mad_u64_u32 v[18:19], null, s3, v177, v[19:20]
	v_add_co_u32 v64, s0, v20, v28
	v_add_co_ci_u32_e64 v65, s0, v21, v29, s0
	v_mov_b32_e32 v19, v40
	v_lshlrev_b64 v[28:29], 4, v[48:49]
	v_mov_b32_e32 v42, v18
	v_mov_b32_e32 v18, v51
	;; [unrolled: 1-line block ×3, first 2 shown]
	v_mad_u64_u32 v[48:49], null, s3, v34, v[19:20]
	v_mov_b32_e32 v34, v53
	v_mad_u64_u32 v[54:55], null, s3, v176, v[18:19]
	v_add_co_u32 v66, s0, v20, v28
	v_add_co_ci_u32_e64 v67, s0, v21, v29, s0
	v_lshlrev_b64 v[28:29], 4, v[41:42]
	v_mad_u64_u32 v[41:42], null, s3, v43, v[34:35]
	v_mov_b32_e32 v40, v48
	v_mov_b32_e32 v51, v54
	s_clause 0x1
	global_load_dwordx4 v[16:19], v[16:17], off
	global_load_dwordx4 v[80:83], v[30:31], off
	v_add_co_u32 v96, s0, v20, v28
	v_lshlrev_b64 v[39:40], 4, v[39:40]
	v_mov_b32_e32 v53, v41
	v_add_co_ci_u32_e64 v97, s0, v21, v29, s0
	s_clause 0x1
	global_load_dwordx4 v[28:31], v[32:33], off
	global_load_dwordx4 v[76:79], v[35:36], off
	v_lshlrev_b64 v[32:33], 4, v[50:51]
	v_add_co_u32 v98, s0, v20, v39
	v_lshlrev_b64 v[34:35], 4, v[52:53]
	v_add_co_ci_u32_e64 v99, s0, v21, v40, s0
	v_add_co_u32 v104, s0, v20, v32
	v_add_co_ci_u32_e64 v105, s0, v21, v33, s0
	v_add_co_u32 v106, s0, v20, v34
	v_add_co_ci_u32_e64 v107, s0, v21, v35, s0
	s_clause 0xf
	global_load_dwordx4 v[52:55], v[37:38], off
	global_load_dwordx4 v[92:95], v[22:23], off
	;; [unrolled: 1-line block ×16, first 2 shown]
	v_mov_b32_e32 v107, v178
	v_mov_b32_e32 v106, v179
	;; [unrolled: 1-line block ×9, first 2 shown]
.LBB0_13:
	s_or_b32 exec_lo, exec_lo, s1
	s_waitcnt vmcnt(22)
	v_add_f64 v[98:99], v[8:9], -v[12:13]
	s_waitcnt vmcnt(18)
	v_add_f64 v[129:130], v[16:17], -v[80:81]
	;; [unrolled: 2-line block ×3, first 2 shown]
	v_add_f64 v[133:134], v[28:29], -v[76:77]
	v_add_f64 v[153:154], v[36:37], -v[68:69]
	;; [unrolled: 1-line block ×3, first 2 shown]
	s_waitcnt vmcnt(2)
	v_add_f64 v[161:162], v[24:25], -v[60:61]
	v_add_f64 v[137:138], v[52:53], -v[92:93]
	;; [unrolled: 1-line block ×3, first 2 shown]
	s_waitcnt vmcnt(0)
	v_add_f64 v[165:166], v[20:21], -v[56:57]
	v_add_f64 v[12:13], v[10:11], -v[14:15]
	;; [unrolled: 1-line block ×11, first 2 shown]
	v_lshl_add_u32 v121, v100, 4, 0
	v_lshl_add_u32 v108, v106, 4, 0
	v_fma_f64 v[96:97], v[8:9], 2.0, -v[98:99]
	v_add_f64 v[8:9], v[2:3], -v[6:7]
	v_fma_f64 v[127:128], v[16:17], 2.0, -v[129:130]
	v_add_f64 v[16:17], v[18:19], -v[82:83]
	;; [unrolled: 2-line block ×4, first 2 shown]
	v_fma_f64 v[151:152], v[36:37], 2.0, -v[153:154]
	v_fma_f64 v[123:124], v[0:1], 2.0, -v[125:126]
	;; [unrolled: 1-line block ×18, first 2 shown]
	v_lshl_add_u32 v196, v100, 3, 0
	v_fma_f64 v[30:31], v[30:31], 2.0, -v[32:33]
	v_lshlrev_b32_e32 v206, 3, v106
	v_fma_f64 v[26:27], v[26:27], 2.0, -v[28:29]
	v_lshl_add_u32 v167, v120, 4, 0
	v_lshl_add_u32 v101, v107, 4, 0
	v_lshlrev_b32_e32 v207, 3, v107
	v_lshl_add_u32 v168, v118, 4, 0
	v_lshl_add_u32 v115, v109, 4, 0
	v_lshlrev_b32_e32 v208, 3, v109
	;; [unrolled: 3-line block ×3, first 2 shown]
	v_lshlrev_b32_e32 v209, 3, v111
	v_lshl_add_u32 v122, v114, 4, 0
	v_lshlrev_b32_e32 v202, 3, v114
	v_lshl_add_u32 v117, v112, 4, 0
	v_lshl_add_u32 v113, v104, 4, 0
	;; [unrolled: 1-line block ×3, first 2 shown]
	ds_write_b128 v121, v[96:99]
	ds_write_b128 v167, v[123:126]
	;; [unrolled: 1-line block ×11, first 2 shown]
	v_add_nc_u32_e32 v152, 0x1000, v196
	v_add_nc_u32_e32 v76, 0x1400, v196
	v_lshlrev_b32_e32 v203, 3, v112
	v_lshlrev_b32_e32 v204, 3, v104
	;; [unrolled: 1-line block ×3, first 2 shown]
	v_sub_nc_u32_e32 v25, v108, v206
	v_and_b32_e32 v34, 1, v100
	v_lshl_add_u32 v197, v120, 3, 0
	v_add_nc_u32_e32 v153, 0x1800, v196
	v_sub_nc_u32_e32 v175, v101, v207
	v_lshl_add_u32 v198, v118, 3, 0
	v_sub_nc_u32_e32 v187, v115, v208
	v_sub_nc_u32_e32 v5, v119, v201
	v_add_nc_u32_e32 v77, 0x2000, v196
	v_sub_nc_u32_e32 v188, v199, v209
	v_sub_nc_u32_e32 v4, v122, v202
	ds_write_b128 v199, v[163:166]
	s_waitcnt lgkmcnt(0)
	s_waitcnt_vscnt null, 0x0
	s_barrier
	buffer_gl0_inv
	v_sub_nc_u32_e32 v20, v117, v203
	v_sub_nc_u32_e32 v21, v113, v204
	;; [unrolled: 1-line block ×3, first 2 shown]
	ds_read_b64 v[44:45], v196
	ds_read_b64 v[60:61], v197
	;; [unrolled: 1-line block ×12, first 2 shown]
	ds_read2_b64 v[56:59], v152 offset0:112 offset1:164
	ds_read2_b64 v[52:55], v76 offset0:88 offset1:140
	;; [unrolled: 1-line block ×6, first 2 shown]
	s_waitcnt lgkmcnt(0)
	s_barrier
	buffer_gl0_inv
	ds_write_b128 v121, v[10:13]
	ds_write_b128 v167, v[6:9]
	;; [unrolled: 1-line block ×7, first 2 shown]
	v_lshlrev_b32_e32 v6, 4, v34
	ds_write_b128 v110, v[78:81]
	ds_write_b128 v108, v[82:85]
	;; [unrolled: 1-line block ×5, first 2 shown]
	s_waitcnt lgkmcnt(0)
	s_barrier
	buffer_gl0_inv
	global_load_dwordx4 v[68:71], v6, s[8:9]
	ds_read2_b64 v[72:75], v152 offset0:112 offset1:164
	ds_read2_b64 v[80:83], v153 offset0:168 offset1:220
	;; [unrolled: 1-line block ×6, first 2 shown]
	v_lshlrev_b32_e32 v35, 1, v118
	v_lshlrev_b32_e32 v62, 1, v112
	;; [unrolled: 1-line block ×12, first 2 shown]
	v_and_or_b32 v35, 0x1fc, v35, v34
	v_and_or_b32 v62, 0x2fc, v62, v34
	;; [unrolled: 1-line block ×12, first 2 shown]
	v_lshl_add_u32 v159, v35, 3, 0
	v_lshl_add_u32 v162, v62, 3, 0
	;; [unrolled: 1-line block ×6, first 2 shown]
	v_add_nc_u32_e32 v155, 0x400, v196
	v_add_nc_u32_e32 v156, 0x800, v196
	v_lshl_add_u32 v163, v128, 3, 0
	v_lshl_add_u32 v164, v129, 3, 0
	v_lshl_add_u32 v165, v130, 3, 0
	v_lshl_add_u32 v166, v131, 3, 0
	v_lshl_add_u32 v167, v132, 3, 0
	v_lshl_add_u32 v168, v133, 3, 0
	ds_read_b64 v[128:129], v196
	ds_read_b64 v[130:131], v197
	;; [unrolled: 1-line block ×4, first 2 shown]
	v_add_nc_u32_e32 v154, 0x1c00, v196
	v_cmp_gt_u32_e64 s0, 44, v100
	s_waitcnt vmcnt(0) lgkmcnt(9)
	v_mul_f64 v[6:7], v[72:73], v[70:71]
	v_mul_f64 v[8:9], v[74:75], v[70:71]
	s_waitcnt lgkmcnt(7)
	v_mul_f64 v[12:13], v[84:85], v[70:71]
	v_mul_f64 v[14:15], v[86:87], v[70:71]
	s_waitcnt lgkmcnt(6)
	v_mul_f64 v[16:17], v[96:97], v[70:71]
	v_mul_f64 v[18:19], v[98:99], v[70:71]
	;; [unrolled: 1-line block ×4, first 2 shown]
	s_waitcnt lgkmcnt(5)
	v_mul_f64 v[26:27], v[88:89], v[70:71]
	v_mul_f64 v[28:29], v[90:91], v[70:71]
	s_waitcnt lgkmcnt(4)
	v_mul_f64 v[30:31], v[92:93], v[70:71]
	v_mul_f64 v[32:33], v[94:95], v[70:71]
	v_fma_f64 v[6:7], v[56:57], v[68:69], -v[6:7]
	v_fma_f64 v[8:9], v[58:59], v[68:69], -v[8:9]
	;; [unrolled: 1-line block ×12, first 2 shown]
	v_add_f64 v[6:7], v[44:45], -v[6:7]
	v_add_f64 v[34:35], v[60:61], -v[8:9]
	;; [unrolled: 1-line block ×12, first 2 shown]
	v_fma_f64 v[22:23], v[44:45], 2.0, -v[6:7]
	v_fma_f64 v[26:27], v[60:61], 2.0, -v[34:35]
	v_fma_f64 v[32:33], v[126:127], 2.0, -v[62:63]
	v_fma_f64 v[60:61], v[136:137], 2.0, -v[64:65]
	v_fma_f64 v[126:127], v[138:139], 2.0, -v[66:67]
	v_fma_f64 v[171:172], v[140:141], 2.0, -v[78:79]
	v_fma_f64 v[173:174], v[142:143], 2.0, -v[124:125]
	v_fma_f64 v[8:9], v[144:145], 2.0, -v[10:11]
	v_fma_f64 v[12:13], v[146:147], 2.0, -v[14:15]
	v_fma_f64 v[16:17], v[148:149], 2.0, -v[18:19]
	v_fma_f64 v[28:29], v[150:151], 2.0, -v[30:31]
	v_fma_f64 v[44:45], v[169:170], 2.0, -v[46:47]
	ds_read_b64 v[136:137], v4
	ds_read_b64 v[138:139], v20
	;; [unrolled: 1-line block ×8, first 2 shown]
	s_waitcnt lgkmcnt(0)
	s_barrier
	buffer_gl0_inv
	ds_write2_b64 v157, v[22:23], v[6:7] offset1:2
	ds_write2_b64 v158, v[26:27], v[34:35] offset1:2
	;; [unrolled: 1-line block ×12, first 2 shown]
	s_waitcnt lgkmcnt(0)
	s_barrier
	buffer_gl0_inv
	ds_read_b64 v[126:127], v196 offset:9216
	ds_read2_b64 v[4:7], v196 offset1:96
	ds_read2_b64 v[20:23], v155 offset0:64 offset1:160
	ds_read2_b64 v[24:27], v156 offset0:128 offset1:224
	;; [unrolled: 1-line block ×3, first 2 shown]
	ds_read2_b64 v[60:63], v153 offset1:96
	ds_read2_b64 v[64:67], v154 offset0:64 offset1:160
                                        ; implicit-def: $vgpr78_vgpr79
	s_and_saveexec_b32 s1, s0
	s_cbranch_execz .LBB0_15
; %bb.14:
	ds_read_b64 v[124:125], v197
	ds_read2_b64 v[8:11], v196 offset0:148 offset1:244
	ds_read2_b64 v[12:15], v156 offset0:84 offset1:180
	;; [unrolled: 1-line block ×6, first 2 shown]
.LBB0_15:
	s_or_b32 exec_lo, exec_lo, s1
	v_mul_f64 v[56:57], v[56:57], v[70:71]
	v_mul_f64 v[58:59], v[58:59], v[70:71]
	v_mul_f64 v[52:53], v[52:53], v[70:71]
	v_mul_f64 v[54:55], v[54:55], v[70:71]
	v_mul_f64 v[48:49], v[48:49], v[70:71]
	v_mul_f64 v[50:51], v[50:51], v[70:71]
	v_mul_f64 v[40:41], v[40:41], v[70:71]
	v_mul_f64 v[42:43], v[42:43], v[70:71]
	v_mul_f64 v[36:37], v[36:37], v[70:71]
	v_mul_f64 v[38:39], v[38:39], v[70:71]
	v_mul_f64 v[0:1], v[0:1], v[70:71]
	v_mul_f64 v[2:3], v[2:3], v[70:71]
	s_waitcnt lgkmcnt(0)
	s_barrier
	buffer_gl0_inv
	v_fma_f64 v[56:57], v[72:73], v[68:69], v[56:57]
	v_fma_f64 v[58:59], v[74:75], v[68:69], v[58:59]
	;; [unrolled: 1-line block ×12, first 2 shown]
                                        ; implicit-def: $vgpr94_vgpr95
	v_add_f64 v[68:69], v[128:129], -v[56:57]
	v_add_f64 v[80:81], v[130:131], -v[58:59]
	;; [unrolled: 1-line block ×12, first 2 shown]
	v_fma_f64 v[0:1], v[128:129], 2.0, -v[68:69]
	v_fma_f64 v[2:3], v[130:131], 2.0, -v[80:81]
	;; [unrolled: 1-line block ×12, first 2 shown]
	ds_write2_b64 v157, v[0:1], v[68:69] offset1:2
	ds_write2_b64 v158, v[2:3], v[80:81] offset1:2
	;; [unrolled: 1-line block ×12, first 2 shown]
	s_waitcnt lgkmcnt(0)
	s_barrier
	buffer_gl0_inv
	ds_read2_b64 v[0:3], v196 offset1:96
	ds_read2_b64 v[40:43], v155 offset0:64 offset1:160
	ds_read2_b64 v[52:55], v156 offset0:128 offset1:224
	;; [unrolled: 1-line block ×3, first 2 shown]
	ds_read2_b64 v[80:83], v153 offset1:96
	ds_read2_b64 v[88:91], v154 offset0:64 offset1:160
	ds_read_b64 v[98:99], v196 offset:9216
	s_and_saveexec_b32 s1, s0
	s_cbranch_execz .LBB0_17
; %bb.16:
	v_add_nc_u32_e32 v48, 0x800, v196
	v_add_nc_u32_e32 v56, 0x1000, v196
	;; [unrolled: 1-line block ×5, first 2 shown]
	ds_read_b64 v[96:97], v197
	ds_read2_b64 v[36:39], v196 offset0:148 offset1:244
	ds_read2_b64 v[48:51], v48 offset0:84 offset1:180
	;; [unrolled: 1-line block ×6, first 2 shown]
.LBB0_17:
	s_or_b32 exec_lo, exec_lo, s1
	v_and_b32_e32 v200, 3, v100
	s_mov_b32 s16, 0x42a4c3d2
	s_mov_b32 s17, 0xbfea55e2
	;; [unrolled: 1-line block ×4, first 2 shown]
	v_mul_u32_u24_e32 v128, 12, v200
	s_mov_b32 s18, 0x2ef20147
	s_mov_b32 s19, 0xbfedeba7
	;; [unrolled: 1-line block ×4, first 2 shown]
	v_lshlrev_b32_e32 v142, 4, v128
	s_mov_b32 s24, 0x66966769
	s_mov_b32 s25, 0xbfefc445
	;; [unrolled: 1-line block ×4, first 2 shown]
	s_clause 0x1
	global_load_dwordx4 v[128:131], v142, s[8:9] offset:208
	global_load_dwordx4 v[134:137], v142, s[8:9] offset:192
	s_mov_b32 s22, 0x4bc48dbf
	s_mov_b32 s23, 0xbfcea1e5
	;; [unrolled: 1-line block ×20, first 2 shown]
	v_lshrrev_b32_e32 v187, 2, v100
	s_mov_b32 s43, 0x3fcea1e5
	s_mov_b32 s42, s22
	;; [unrolled: 1-line block ×4, first 2 shown]
	v_mul_u32_u24_e32 v187, 52, v187
	v_or_b32_e32 v187, v187, v200
	s_waitcnt vmcnt(1) lgkmcnt(0)
	v_mul_f64 v[132:133], v[98:99], v[130:131]
	v_fma_f64 v[132:133], v[126:127], v[128:129], -v[132:133]
	v_mul_f64 v[126:127], v[126:127], v[130:131]
	v_fma_f64 v[126:127], v[98:99], v[128:129], v[126:127]
	v_mul_f64 v[98:99], v[94:95], v[130:131]
	v_fma_f64 v[98:99], v[78:79], v[128:129], -v[98:99]
	v_mul_f64 v[78:79], v[78:79], v[130:131]
	v_fma_f64 v[78:79], v[94:95], v[128:129], v[78:79]
	s_waitcnt vmcnt(0)
	v_mul_f64 v[94:95], v[92:93], v[136:137]
	v_fma_f64 v[94:95], v[76:77], v[134:135], -v[94:95]
	v_mul_f64 v[76:77], v[76:77], v[136:137]
	v_fma_f64 v[76:77], v[92:93], v[134:135], v[76:77]
	v_mul_f64 v[92:93], v[90:91], v[136:137]
	v_fma_f64 v[130:131], v[66:67], v[134:135], -v[92:93]
	v_mul_f64 v[66:67], v[66:67], v[136:137]
	v_fma_f64 v[90:91], v[90:91], v[134:135], v[66:67]
	s_clause 0x1
	global_load_dwordx4 v[134:137], v142, s[8:9] offset:176
	global_load_dwordx4 v[138:141], v142, s[8:9] offset:160
	s_waitcnt vmcnt(1)
	v_mul_f64 v[66:67], v[88:89], v[136:137]
	v_fma_f64 v[128:129], v[64:65], v[134:135], -v[66:67]
	v_mul_f64 v[64:65], v[64:65], v[136:137]
	v_fma_f64 v[92:93], v[88:89], v[134:135], v[64:65]
	v_mul_f64 v[64:65], v[86:87], v[136:137]
	v_fma_f64 v[88:89], v[46:47], v[134:135], -v[64:65]
	s_waitcnt vmcnt(0)
	v_mul_f64 v[64:65], v[84:85], v[140:141]
	v_mul_f64 v[46:47], v[46:47], v[136:137]
	v_fma_f64 v[66:67], v[44:45], v[138:139], -v[64:65]
	v_mul_f64 v[64:65], v[82:83], v[140:141]
	v_fma_f64 v[46:47], v[86:87], v[134:135], v[46:47]
	v_mul_f64 v[44:45], v[44:45], v[140:141]
	v_fma_f64 v[86:87], v[62:63], v[138:139], -v[64:65]
	v_mul_f64 v[62:63], v[62:63], v[140:141]
	v_fma_f64 v[44:45], v[84:85], v[138:139], v[44:45]
	v_fma_f64 v[82:83], v[82:83], v[138:139], v[62:63]
	s_clause 0x1
	global_load_dwordx4 v[134:137], v142, s[8:9] offset:144
	global_load_dwordx4 v[138:141], v142, s[8:9] offset:128
	s_waitcnt vmcnt(1)
	v_mul_f64 v[62:63], v[80:81], v[136:137]
	v_fma_f64 v[84:85], v[60:61], v[134:135], -v[62:63]
	v_mul_f64 v[60:61], v[60:61], v[136:137]
	s_waitcnt vmcnt(0)
	v_mul_f64 v[62:63], v[70:71], v[140:141]
	v_fma_f64 v[80:81], v[80:81], v[134:135], v[60:61]
	v_mul_f64 v[60:61], v[74:75], v[136:137]
	v_fma_f64 v[64:65], v[30:31], v[134:135], -v[60:61]
	v_mul_f64 v[60:61], v[72:73], v[140:141]
	v_mul_f64 v[30:31], v[30:31], v[136:137]
	v_fma_f64 v[60:61], v[28:29], v[138:139], -v[60:61]
	v_mul_f64 v[28:29], v[28:29], v[140:141]
	v_fma_f64 v[30:31], v[74:75], v[134:135], v[30:31]
	v_fma_f64 v[28:29], v[72:73], v[138:139], v[28:29]
	v_fma_f64 v[72:73], v[34:35], v[138:139], -v[62:63]
	v_mul_f64 v[34:35], v[34:35], v[140:141]
	v_fma_f64 v[70:71], v[70:71], v[138:139], v[34:35]
	s_clause 0x1
	global_load_dwordx4 v[134:137], v142, s[8:9] offset:112
	global_load_dwordx4 v[138:141], v142, s[8:9] offset:96
	s_waitcnt vmcnt(1)
	v_mul_f64 v[34:35], v[68:69], v[136:137]
	v_fma_f64 v[74:75], v[32:33], v[134:135], -v[34:35]
	v_mul_f64 v[32:33], v[32:33], v[136:137]
	v_fma_f64 v[68:69], v[68:69], v[134:135], v[32:33]
	v_mul_f64 v[32:33], v[58:59], v[136:137]
	v_fma_f64 v[62:63], v[18:19], v[134:135], -v[32:33]
	v_mul_f64 v[18:19], v[18:19], v[136:137]
	v_fma_f64 v[32:33], v[58:59], v[134:135], v[18:19]
	s_waitcnt vmcnt(0)
	v_mul_f64 v[18:19], v[56:57], v[140:141]
	v_fma_f64 v[58:59], v[16:17], v[138:139], -v[18:19]
	v_mul_f64 v[16:17], v[16:17], v[140:141]
	v_fma_f64 v[34:35], v[56:57], v[138:139], v[16:17]
	v_mul_f64 v[16:17], v[54:55], v[140:141]
	v_fma_f64 v[56:57], v[26:27], v[138:139], -v[16:17]
	v_mul_f64 v[16:17], v[26:27], v[140:141]
	v_fma_f64 v[16:17], v[54:55], v[138:139], v[16:17]
	s_clause 0x1
	global_load_dwordx4 v[134:137], v142, s[8:9] offset:80
	global_load_dwordx4 v[138:141], v142, s[8:9] offset:64
	s_waitcnt vmcnt(1)
	v_mul_f64 v[18:19], v[52:53], v[136:137]
	v_fma_f64 v[54:55], v[24:25], v[134:135], -v[18:19]
	v_mul_f64 v[18:19], v[24:25], v[136:137]
	v_mul_f64 v[24:25], v[50:51], v[136:137]
	v_fma_f64 v[18:19], v[52:53], v[134:135], v[18:19]
	v_fma_f64 v[52:53], v[14:15], v[134:135], -v[24:25]
	v_mul_f64 v[14:15], v[14:15], v[136:137]
	v_fma_f64 v[26:27], v[50:51], v[134:135], v[14:15]
	s_waitcnt vmcnt(0)
	v_mul_f64 v[14:15], v[48:49], v[140:141]
	v_fma_f64 v[50:51], v[12:13], v[138:139], -v[14:15]
	v_mul_f64 v[12:13], v[12:13], v[140:141]
	v_fma_f64 v[48:49], v[48:49], v[138:139], v[12:13]
	v_mul_f64 v[12:13], v[42:43], v[140:141]
	v_fma_f64 v[24:25], v[22:23], v[138:139], -v[12:13]
	v_mul_f64 v[12:13], v[22:23], v[140:141]
	v_fma_f64 v[12:13], v[42:43], v[138:139], v[12:13]
	s_clause 0x1
	global_load_dwordx4 v[134:137], v142, s[8:9] offset:48
	global_load_dwordx4 v[138:141], v142, s[8:9] offset:32
	s_waitcnt vmcnt(0)
	s_barrier
	buffer_gl0_inv
	v_mul_f64 v[14:15], v[40:41], v[136:137]
	v_fma_f64 v[22:23], v[20:21], v[134:135], -v[14:15]
	v_mul_f64 v[14:15], v[20:21], v[136:137]
	v_mul_f64 v[20:21], v[38:39], v[136:137]
	v_fma_f64 v[14:15], v[40:41], v[134:135], v[14:15]
	v_fma_f64 v[40:41], v[10:11], v[134:135], -v[20:21]
	v_mul_f64 v[10:11], v[10:11], v[136:137]
	v_add_f64 v[136:137], v[14:15], -v[90:91]
	v_fma_f64 v[38:39], v[38:39], v[134:135], v[10:11]
	v_mul_f64 v[10:11], v[36:37], v[140:141]
	v_mul_f64 v[221:222], v[136:137], s[38:39]
	v_fma_f64 v[42:43], v[8:9], v[138:139], -v[10:11]
	v_mul_f64 v[8:9], v[8:9], v[140:141]
	v_fma_f64 v[36:37], v[36:37], v[138:139], v[8:9]
	v_mul_f64 v[8:9], v[6:7], v[140:141]
	v_fma_f64 v[8:9], v[2:3], v[138:139], v[8:9]
	v_mul_f64 v[2:3], v[2:3], v[140:141]
	v_add_f64 v[10:11], v[8:9], -v[126:127]
	v_fma_f64 v[2:3], v[6:7], v[138:139], -v[2:3]
	v_mul_f64 v[138:139], v[136:137], s[18:19]
	v_mul_f64 v[134:135], v[10:11], s[16:17]
	v_add_f64 v[6:7], v[2:3], v[132:133]
	v_fma_f64 v[20:21], v[6:7], s[4:5], -v[134:135]
	v_fma_f64 v[134:135], v[6:7], s[4:5], v[134:135]
	v_add_f64 v[140:141], v[4:5], v[20:21]
	v_add_f64 v[20:21], v[22:23], v[130:131]
	;; [unrolled: 1-line block ×3, first 2 shown]
	v_fma_f64 v[142:143], v[20:21], s[6:7], -v[138:139]
	v_fma_f64 v[223:224], v[20:21], s[10:11], -v[221:222]
	v_fma_f64 v[138:139], v[20:21], s[6:7], v[138:139]
	v_add_f64 v[148:149], v[142:143], v[140:141]
	v_mul_f64 v[140:141], v[10:11], s[24:25]
	v_add_f64 v[134:135], v[138:139], v[134:135]
	v_fma_f64 v[142:143], v[6:7], s[10:11], -v[140:141]
	v_fma_f64 v[138:139], v[6:7], s[10:11], v[140:141]
	v_add_f64 v[144:145], v[4:5], v[142:143]
	v_mul_f64 v[142:143], v[136:137], s[22:23]
	v_add_f64 v[138:139], v[4:5], v[138:139]
	v_fma_f64 v[146:147], v[20:21], s[14:15], -v[142:143]
	v_fma_f64 v[140:141], v[20:21], s[14:15], v[142:143]
	v_add_f64 v[152:153], v[146:147], v[144:145]
	v_add_f64 v[146:147], v[12:13], -v[92:93]
	v_add_f64 v[144:145], v[24:25], v[128:129]
	v_add_f64 v[138:139], v[140:141], v[138:139]
	v_mul_f64 v[150:151], v[146:147], s[22:23]
	v_fma_f64 v[154:155], v[144:145], s[14:15], -v[150:151]
	v_fma_f64 v[140:141], v[144:145], s[14:15], v[150:151]
	v_add_f64 v[158:159], v[154:155], v[148:149]
	v_mul_f64 v[154:155], v[146:147], s[30:31]
	v_add_f64 v[134:135], v[140:141], v[134:135]
	v_fma_f64 v[148:149], v[144:145], s[6:7], -v[154:155]
	v_fma_f64 v[140:141], v[144:145], s[6:7], v[154:155]
	v_add_f64 v[160:161], v[148:149], v[152:153]
	v_add_f64 v[152:153], v[18:19], -v[82:83]
	v_add_f64 v[148:149], v[54:55], v[86:87]
	v_add_f64 v[138:139], v[140:141], v[138:139]
	v_mul_f64 v[156:157], v[152:153], s[34:35]
	;; [unrolled: 12-line block ×4, first 2 shown]
	v_fma_f64 v[212:213], v[164:165], s[26:27], -v[172:173]
	v_fma_f64 v[140:141], v[164:165], s[26:27], v[172:173]
	v_add_f64 v[212:213], v[212:213], v[174:175]
	v_mul_f64 v[174:175], v[166:167], s[28:29]
	v_add_f64 v[134:135], v[140:141], v[134:135]
	v_fma_f64 v[214:215], v[164:165], s[20:21], -v[174:175]
	v_fma_f64 v[140:141], v[164:165], s[20:21], v[174:175]
	v_sub_nc_u32_e32 v175, 0, v209
	v_lshrrev_b32_e32 v174, 2, v120
	v_add_f64 v[214:215], v[214:215], v[210:211]
	v_lshl_add_u32 v210, v187, 3, 0
	v_add_f64 v[138:139], v[140:141], v[138:139]
	ds_write2_b64 v210, v[212:213], v[214:215] offset0:8 offset1:12
	v_mul_f64 v[211:212], v[10:11], s[18:19]
	v_mul_f64 v[215:216], v[136:137], s[34:35]
	ds_write2_b64 v210, v[138:139], v[134:135] offset0:40 offset1:44
	v_fma_f64 v[213:214], v[6:7], s[6:7], -v[211:212]
	v_fma_f64 v[217:218], v[20:21], s[20:21], -v[215:216]
	v_fma_f64 v[211:212], v[6:7], s[6:7], v[211:212]
	v_add_f64 v[213:214], v[4:5], v[213:214]
	v_add_f64 v[211:212], v[4:5], v[211:212]
	;; [unrolled: 1-line block ×3, first 2 shown]
	v_mul_f64 v[217:218], v[10:11], s[28:29]
	v_fma_f64 v[219:220], v[6:7], s[20:21], -v[217:218]
	v_add_f64 v[219:220], v[4:5], v[219:220]
	v_add_f64 v[219:220], v[223:224], v[219:220]
	v_mul_f64 v[223:224], v[146:147], s[36:37]
	v_fma_f64 v[225:226], v[144:145], s[26:27], -v[223:224]
	v_add_f64 v[213:214], v[225:226], v[213:214]
	v_mul_f64 v[225:226], v[146:147], s[16:17]
	v_fma_f64 v[227:228], v[144:145], s[4:5], -v[225:226]
	;; [unrolled: 3-line block ×8, first 2 shown]
	v_add_f64 v[219:220], v[239:240], v[219:220]
	v_mul_f64 v[239:240], v[136:137], s[36:37]
	ds_write2_b64 v210, v[213:214], v[219:220] offset0:16 offset1:20
	v_mul_f64 v[213:214], v[10:11], s[22:23]
	v_fma_f64 v[241:242], v[20:21], s[26:27], -v[239:240]
	v_fma_f64 v[239:240], v[20:21], s[26:27], v[239:240]
	v_mul_f64 v[10:11], v[10:11], s[40:41]
	v_fma_f64 v[219:220], v[6:7], s[14:15], -v[213:214]
	v_fma_f64 v[213:214], v[6:7], s[14:15], v[213:214]
	v_fma_f64 v[134:135], v[6:7], s[26:27], -v[10:11]
	v_add_f64 v[219:220], v[4:5], v[219:220]
	v_add_f64 v[213:214], v[4:5], v[213:214]
	;; [unrolled: 1-line block ×4, first 2 shown]
	v_mul_f64 v[239:240], v[146:147], s[28:29]
	v_fma_f64 v[241:242], v[144:145], s[20:21], -v[239:240]
	v_fma_f64 v[239:240], v[144:145], s[20:21], v[239:240]
	v_add_f64 v[219:220], v[241:242], v[219:220]
	v_add_f64 v[213:214], v[239:240], v[213:214]
	v_mul_f64 v[239:240], v[152:153], s[44:45]
	v_fma_f64 v[241:242], v[148:149], s[4:5], -v[239:240]
	v_fma_f64 v[239:240], v[148:149], s[4:5], v[239:240]
	v_add_f64 v[219:220], v[241:242], v[219:220]
	v_add_f64 v[213:214], v[239:240], v[213:214]
	;; [unrolled: 5-line block ×4, first 2 shown]
	ds_write2_b64 v210, v[219:220], v[213:214] offset0:24 offset1:28
	v_fma_f64 v[213:214], v[20:21], s[20:21], v[215:216]
	v_fma_f64 v[215:216], v[20:21], s[10:11], v[221:222]
	v_add_f64 v[211:212], v[213:214], v[211:212]
	v_fma_f64 v[213:214], v[6:7], s[20:21], v[217:218]
	v_fma_f64 v[6:7], v[6:7], s[26:27], v[10:11]
	v_add_f64 v[10:11], v[4:5], v[134:135]
	v_mul_f64 v[134:135], v[136:137], s[16:17]
	v_add_f64 v[213:214], v[4:5], v[213:214]
	v_add_f64 v[6:7], v[4:5], v[6:7]
	;; [unrolled: 1-line block ×3, first 2 shown]
	v_fma_f64 v[136:137], v[20:21], s[4:5], -v[134:135]
	v_add_f64 v[213:214], v[215:216], v[213:214]
	v_fma_f64 v[215:216], v[144:145], s[26:27], v[223:224]
	v_add_f64 v[4:5], v[4:5], v[22:23]
	v_add_f64 v[10:11], v[136:137], v[10:11]
	v_mul_f64 v[136:137], v[146:147], s[24:25]
	v_add_f64 v[211:212], v[215:216], v[211:212]
	v_add_f64 v[4:5], v[4:5], v[24:25]
	v_fma_f64 v[215:216], v[144:145], s[4:5], v[225:226]
	v_fma_f64 v[138:139], v[144:145], s[10:11], -v[136:137]
	v_add_f64 v[4:5], v[4:5], v[54:55]
	v_add_f64 v[213:214], v[215:216], v[213:214]
	v_add_f64 v[10:11], v[138:139], v[10:11]
	v_mul_f64 v[138:139], v[152:153], s[18:19]
	v_fma_f64 v[215:216], v[148:149], s[10:11], v[227:228]
	v_add_f64 v[4:5], v[4:5], v[56:57]
	v_fma_f64 v[140:141], v[148:149], s[6:7], -v[138:139]
	v_add_f64 v[211:212], v[215:216], v[211:212]
	v_fma_f64 v[215:216], v[148:149], s[14:15], v[229:230]
	v_add_f64 v[4:5], v[4:5], v[74:75]
	v_add_f64 v[10:11], v[140:141], v[10:11]
	v_mul_f64 v[140:141], v[162:163], s[28:29]
	v_add_f64 v[213:214], v[215:216], v[213:214]
	v_fma_f64 v[215:216], v[160:161], s[14:15], v[231:232]
	v_add_f64 v[4:5], v[4:5], v[72:73]
	v_fma_f64 v[142:143], v[160:161], s[20:21], -v[140:141]
	v_add_f64 v[211:212], v[215:216], v[211:212]
	v_fma_f64 v[215:216], v[160:161], s[26:27], v[233:234]
	v_add_f64 v[4:5], v[4:5], v[84:85]
	v_add_f64 v[10:11], v[142:143], v[10:11]
	v_mul_f64 v[142:143], v[166:167], s[22:23]
	v_add_f64 v[213:214], v[215:216], v[213:214]
	v_fma_f64 v[215:216], v[164:165], s[4:5], v[235:236]
	v_add_f64 v[4:5], v[4:5], v[86:87]
	v_fma_f64 v[146:147], v[164:165], s[14:15], -v[142:143]
	v_add_f64 v[211:212], v[215:216], v[211:212]
	v_fma_f64 v[215:216], v[164:165], s[6:7], v[237:238]
	v_add_f64 v[4:5], v[4:5], v[128:129]
	v_add_f64 v[10:11], v[146:147], v[10:11]
	;; [unrolled: 1-line block ×4, first 2 shown]
	ds_write2_b64 v210, v[213:214], v[211:212] offset0:32 offset1:36
	v_sub_nc_u32_e32 v214, 0, v201
	v_sub_nc_u32_e32 v213, 0, v202
	;; [unrolled: 1-line block ×8, first 2 shown]
	v_add_f64 v[4:5], v[4:5], v[132:133]
	ds_write2_b64 v210, v[4:5], v[10:11] offset1:4
	v_fma_f64 v[4:5], v[20:21], s[4:5], v[134:135]
	v_fma_f64 v[10:11], v[144:145], s[10:11], v[136:137]
	v_add_f64 v[4:5], v[4:5], v[6:7]
	v_fma_f64 v[6:7], v[148:149], s[6:7], v[138:139]
	v_add_f64 v[4:5], v[10:11], v[4:5]
	;; [unrolled: 2-line block ×4, first 2 shown]
	v_add_f64 v[4:5], v[6:7], v[4:5]
	ds_write_b64 v210, v[4:5] offset:384
	s_and_saveexec_b32 s1, s0
	s_cbranch_execz .LBB0_19
; %bb.18:
	v_add_f64 v[6:7], v[36:37], -v[78:79]
	v_add_f64 v[4:5], v[42:43], v[98:99]
	v_add_f64 v[20:21], v[38:39], -v[76:77]
	v_add_f64 v[140:141], v[48:49], -v[46:47]
	v_mul_lo_u32 v187, v174, 52
	v_or_b32_e32 v187, v187, v200
	v_lshl_add_u32 v187, v187, 3, 0
	v_mul_f64 v[150:151], v[6:7], s[24:25]
	v_mul_f64 v[154:155], v[6:7], s[16:17]
	;; [unrolled: 1-line block ×7, first 2 shown]
	v_fma_f64 v[10:11], v[4:5], s[10:11], -v[150:151]
	v_fma_f64 v[150:151], v[4:5], s[10:11], v[150:151]
	v_add_f64 v[134:135], v[124:125], v[10:11]
	v_add_f64 v[10:11], v[40:41], v[94:95]
	v_add_f64 v[150:151], v[124:125], v[150:151]
	v_fma_f64 v[136:137], v[10:11], s[14:15], -v[152:153]
	v_fma_f64 v[138:139], v[10:11], s[6:7], -v[156:157]
	;; [unrolled: 1-line block ×3, first 2 shown]
	v_fma_f64 v[152:153], v[10:11], s[14:15], v[152:153]
	v_add_f64 v[134:135], v[136:137], v[134:135]
	v_fma_f64 v[136:137], v[4:5], s[4:5], -v[154:155]
	v_add_f64 v[150:151], v[152:153], v[150:151]
	v_fma_f64 v[152:153], v[4:5], s[4:5], v[154:155]
	v_fma_f64 v[154:155], v[10:11], s[6:7], v[156:157]
	v_add_f64 v[136:137], v[124:125], v[136:137]
	v_add_f64 v[152:153], v[124:125], v[152:153]
	;; [unrolled: 1-line block ×5, first 2 shown]
	v_fma_f64 v[142:143], v[136:137], s[6:7], -v[158:159]
	v_fma_f64 v[154:155], v[136:137], s[6:7], v[158:159]
	v_add_f64 v[142:143], v[142:143], v[134:135]
	v_fma_f64 v[134:135], v[136:137], s[14:15], -v[160:161]
	v_add_f64 v[150:151], v[154:155], v[150:151]
	v_fma_f64 v[154:155], v[136:137], s[14:15], v[160:161]
	v_add_f64 v[144:145], v[134:135], v[138:139]
	v_add_f64 v[138:139], v[26:27], -v[44:45]
	v_add_f64 v[134:135], v[52:53], v[66:67]
	v_add_f64 v[152:153], v[154:155], v[152:153]
	v_mul_f64 v[162:163], v[138:139], s[36:37]
	v_mul_f64 v[164:165], v[138:139], s[34:35]
	v_fma_f64 v[146:147], v[134:135], s[26:27], -v[162:163]
	v_fma_f64 v[154:155], v[134:135], s[26:27], v[162:163]
	v_add_f64 v[146:147], v[146:147], v[142:143]
	v_fma_f64 v[142:143], v[134:135], s[20:21], -v[164:165]
	v_add_f64 v[150:151], v[154:155], v[150:151]
	v_fma_f64 v[154:155], v[134:135], s[20:21], v[164:165]
	v_add_f64 v[148:149], v[142:143], v[144:145]
	v_add_f64 v[144:145], v[34:35], -v[30:31]
	v_add_f64 v[142:143], v[58:59], v[64:65]
	v_add_f64 v[152:153], v[154:155], v[152:153]
	v_mul_f64 v[166:167], v[144:145], s[16:17]
	v_fma_f64 v[168:169], v[142:143], s[4:5], -v[166:167]
	v_fma_f64 v[154:155], v[142:143], s[4:5], v[166:167]
	v_add_f64 v[172:173], v[168:169], v[146:147]
	v_mul_f64 v[168:169], v[144:145], s[38:39]
	v_add_f64 v[150:151], v[154:155], v[150:151]
	v_fma_f64 v[146:147], v[142:143], s[10:11], -v[168:169]
	v_fma_f64 v[154:155], v[142:143], s[10:11], v[168:169]
	v_add_f64 v[205:206], v[146:147], v[148:149]
	v_add_f64 v[148:149], v[32:33], -v[28:29]
	v_add_f64 v[146:147], v[62:63], v[60:61]
	v_add_f64 v[152:153], v[154:155], v[152:153]
	v_mul_f64 v[170:171], v[148:149], s[28:29]
	v_fma_f64 v[207:208], v[146:147], s[20:21], -v[170:171]
	v_fma_f64 v[154:155], v[146:147], s[20:21], v[170:171]
	v_add_f64 v[207:208], v[207:208], v[172:173]
	v_mul_f64 v[172:173], v[148:149], s[36:37]
	v_add_f64 v[150:151], v[154:155], v[150:151]
	v_fma_f64 v[215:216], v[146:147], s[26:27], -v[172:173]
	v_fma_f64 v[154:155], v[146:147], s[26:27], v[172:173]
	v_add_f64 v[205:206], v[215:216], v[205:206]
	v_mul_f64 v[215:216], v[20:21], s[38:39]
	v_add_f64 v[152:153], v[154:155], v[152:153]
	ds_write2_b64 v187, v[205:206], v[207:208] offset0:8 offset1:12
	v_mul_f64 v[205:206], v[6:7], s[28:29]
	v_fma_f64 v[217:218], v[10:11], s[10:11], -v[215:216]
	ds_write2_b64 v187, v[150:151], v[152:153] offset0:40 offset1:44
	v_fma_f64 v[207:208], v[4:5], s[20:21], -v[205:206]
	v_fma_f64 v[205:206], v[4:5], s[20:21], v[205:206]
	v_add_f64 v[207:208], v[124:125], v[207:208]
	v_add_f64 v[205:206], v[124:125], v[205:206]
	;; [unrolled: 1-line block ×3, first 2 shown]
	v_mul_f64 v[217:218], v[6:7], s[18:19]
	v_fma_f64 v[219:220], v[4:5], s[6:7], -v[217:218]
	v_add_f64 v[219:220], v[124:125], v[219:220]
	v_add_f64 v[219:220], v[223:224], v[219:220]
	v_mul_f64 v[223:224], v[140:141], s[16:17]
	v_fma_f64 v[225:226], v[136:137], s[4:5], -v[223:224]
	v_add_f64 v[207:208], v[225:226], v[207:208]
	v_mul_f64 v[225:226], v[140:141], s[36:37]
	v_fma_f64 v[227:228], v[136:137], s[26:27], -v[225:226]
	;; [unrolled: 3-line block ×8, first 2 shown]
	v_add_f64 v[219:220], v[239:240], v[219:220]
	v_mul_f64 v[239:240], v[20:21], s[36:37]
	ds_write2_b64 v187, v[219:220], v[207:208] offset0:16 offset1:20
	v_mul_f64 v[207:208], v[6:7], s[22:23]
	v_fma_f64 v[241:242], v[10:11], s[26:27], v[239:240]
	v_fma_f64 v[239:240], v[10:11], s[26:27], -v[239:240]
	v_mul_f64 v[6:7], v[6:7], s[40:41]
	v_fma_f64 v[219:220], v[4:5], s[14:15], v[207:208]
	v_fma_f64 v[207:208], v[4:5], s[14:15], -v[207:208]
	v_fma_f64 v[150:151], v[4:5], s[26:27], -v[6:7]
	v_add_f64 v[219:220], v[124:125], v[219:220]
	v_add_f64 v[207:208], v[124:125], v[207:208]
	;; [unrolled: 1-line block ×4, first 2 shown]
	v_mul_f64 v[239:240], v[140:141], s[28:29]
	v_fma_f64 v[241:242], v[136:137], s[20:21], v[239:240]
	v_fma_f64 v[239:240], v[136:137], s[20:21], -v[239:240]
	v_add_f64 v[219:220], v[241:242], v[219:220]
	v_add_f64 v[207:208], v[239:240], v[207:208]
	v_mul_f64 v[239:240], v[138:139], s[44:45]
	v_fma_f64 v[241:242], v[134:135], s[4:5], v[239:240]
	v_fma_f64 v[239:240], v[134:135], s[4:5], -v[239:240]
	v_add_f64 v[219:220], v[241:242], v[219:220]
	v_add_f64 v[207:208], v[239:240], v[207:208]
	;; [unrolled: 5-line block ×4, first 2 shown]
	ds_write2_b64 v187, v[207:208], v[219:220] offset0:24 offset1:28
	v_fma_f64 v[207:208], v[10:11], s[10:11], v[215:216]
	v_fma_f64 v[215:216], v[10:11], s[20:21], v[221:222]
	v_add_f64 v[205:206], v[207:208], v[205:206]
	v_fma_f64 v[207:208], v[4:5], s[6:7], v[217:218]
	v_fma_f64 v[4:5], v[4:5], s[26:27], v[6:7]
	v_mul_f64 v[6:7], v[20:21], s[16:17]
	v_add_f64 v[207:208], v[124:125], v[207:208]
	v_add_f64 v[4:5], v[124:125], v[4:5]
	v_fma_f64 v[20:21], v[10:11], s[4:5], -v[6:7]
	v_fma_f64 v[6:7], v[10:11], s[4:5], v[6:7]
	v_mul_f64 v[10:11], v[140:141], s[24:25]
	v_add_f64 v[207:208], v[215:216], v[207:208]
	v_fma_f64 v[215:216], v[136:137], s[4:5], v[223:224]
	v_add_f64 v[4:5], v[6:7], v[4:5]
	v_fma_f64 v[140:141], v[136:137], s[10:11], -v[10:11]
	v_fma_f64 v[10:11], v[136:137], s[10:11], v[10:11]
	v_add_f64 v[205:206], v[215:216], v[205:206]
	v_fma_f64 v[215:216], v[136:137], s[26:27], v[225:226]
	v_add_f64 v[136:137], v[124:125], v[150:151]
	v_add_f64 v[4:5], v[10:11], v[4:5]
	v_mul_f64 v[10:11], v[144:145], s[28:29]
	v_add_f64 v[207:208], v[215:216], v[207:208]
	v_add_f64 v[20:21], v[20:21], v[136:137]
	v_fma_f64 v[215:216], v[134:135], s[14:15], v[227:228]
	v_add_f64 v[6:7], v[140:141], v[20:21]
	v_mul_f64 v[20:21], v[138:139], s[18:19]
	v_add_f64 v[205:206], v[215:216], v[205:206]
	v_fma_f64 v[215:216], v[134:135], s[10:11], v[229:230]
	v_fma_f64 v[136:137], v[134:135], s[6:7], -v[20:21]
	v_fma_f64 v[20:21], v[134:135], s[6:7], v[20:21]
	v_fma_f64 v[134:135], v[142:143], s[20:21], -v[10:11]
	v_fma_f64 v[10:11], v[142:143], s[20:21], v[10:11]
	v_add_f64 v[207:208], v[215:216], v[207:208]
	v_fma_f64 v[215:216], v[142:143], s[26:27], v[231:232]
	v_add_f64 v[6:7], v[136:137], v[6:7]
	v_add_f64 v[4:5], v[20:21], v[4:5]
	v_mul_f64 v[20:21], v[148:149], s[22:23]
	v_add_f64 v[205:206], v[215:216], v[205:206]
	v_fma_f64 v[215:216], v[142:143], s[14:15], v[233:234]
	v_add_f64 v[6:7], v[134:135], v[6:7]
	v_add_f64 v[4:5], v[10:11], v[4:5]
	;; [unrolled: 1-line block ×3, first 2 shown]
	v_fma_f64 v[134:135], v[146:147], s[14:15], -v[20:21]
	v_fma_f64 v[20:21], v[146:147], s[14:15], v[20:21]
	v_add_f64 v[207:208], v[215:216], v[207:208]
	v_fma_f64 v[215:216], v[146:147], s[6:7], v[235:236]
	v_add_f64 v[10:11], v[10:11], v[40:41]
	v_add_f64 v[6:7], v[134:135], v[6:7]
	;; [unrolled: 1-line block ×4, first 2 shown]
	v_fma_f64 v[215:216], v[146:147], s[4:5], v[237:238]
	v_add_f64 v[10:11], v[10:11], v[50:51]
	v_add_f64 v[207:208], v[215:216], v[207:208]
	;; [unrolled: 1-line block ×3, first 2 shown]
	ds_write2_b64 v187, v[205:206], v[207:208] offset0:32 offset1:36
	v_add_f64 v[10:11], v[10:11], v[58:59]
	v_add_f64 v[10:11], v[10:11], v[62:63]
	v_add_f64 v[10:11], v[10:11], v[60:61]
	v_add_f64 v[10:11], v[10:11], v[64:65]
	v_add_f64 v[10:11], v[10:11], v[66:67]
	v_add_f64 v[10:11], v[10:11], v[88:89]
	v_add_f64 v[10:11], v[10:11], v[94:95]
	v_add_f64 v[10:11], v[10:11], v[98:99]
	ds_write2_b64 v187, v[10:11], v[6:7] offset1:4
	ds_write_b64 v187, v[4:5] offset:384
.LBB0_19:
	s_or_b32 exec_lo, exec_lo, s1
	v_add_f64 v[4:5], v[0:1], v[8:9]
	v_add_f64 v[139:140], v[14:15], v[90:91]
	;; [unrolled: 1-line block ×3, first 2 shown]
	v_add_f64 v[20:21], v[2:3], -v[132:133]
	v_add_f64 v[10:11], v[8:9], v[126:127]
	v_add_f64 v[22:23], v[22:23], -v[130:131]
	v_add_f64 v[24:25], v[24:25], -v[128:129]
	;; [unrolled: 1-line block ×4, first 2 shown]
	v_add_f64 v[86:87], v[16:17], v[80:81]
	v_add_f64 v[56:57], v[56:57], -v[84:85]
	v_add_f64 v[84:85], v[68:69], v[70:71]
	v_add_f64 v[143:144], v[18:19], v[82:83]
	v_add_nc_u32_e32 v131, v110, v204
	v_add_nc_u32_e32 v132, v108, v203
	;; [unrolled: 1-line block ×9, first 2 shown]
	v_add_f64 v[14:15], v[4:5], v[14:15]
	v_add_nc_u32_e32 v138, 0x1400, v196
	v_add_nc_u32_e32 v136, 0x1800, v196
	v_mul_f64 v[74:75], v[20:21], s[16:17]
	v_mul_f64 v[145:146], v[20:21], s[24:25]
	;; [unrolled: 1-line block ×19, first 2 shown]
	v_add_f64 v[12:13], v[14:15], v[12:13]
	v_mul_f64 v[14:15], v[20:21], s[40:41]
	v_mul_f64 v[20:21], v[20:21], s[22:23]
	v_fma_f64 v[231:232], v[10:11], s[4:5], v[74:75]
	v_fma_f64 v[74:75], v[10:11], s[4:5], -v[74:75]
	v_fma_f64 v[233:234], v[10:11], s[10:11], v[145:146]
	v_fma_f64 v[145:146], v[10:11], s[10:11], -v[145:146]
	;; [unrolled: 2-line block ×8, first 2 shown]
	v_fma_f64 v[249:250], v[141:142], s[14:15], v[163:164]
	v_fma_f64 v[251:252], v[141:142], s[26:27], v[167:168]
	v_fma_f64 v[167:168], v[141:142], s[26:27], -v[167:168]
	v_add_f64 v[12:13], v[12:13], v[18:19]
	v_fma_f64 v[229:230], v[10:11], s[26:27], v[14:15]
	v_fma_f64 v[14:15], v[10:11], s[26:27], -v[14:15]
	v_fma_f64 v[237:238], v[10:11], s[14:15], v[20:21]
	v_fma_f64 v[253:254], v[141:142], s[4:5], v[169:170]
	v_fma_f64 v[169:170], v[141:142], s[4:5], -v[169:170]
	v_fma_f64 v[187:188], v[141:142], s[20:21], v[24:25]
	v_fma_f64 v[24:25], v[141:142], s[20:21], -v[24:25]
	v_add_f64 v[74:75], v[0:1], v[74:75]
	v_add_f64 v[145:146], v[0:1], v[145:146]
	v_add_f64 v[149:150], v[0:1], v[149:150]
	v_mul_f64 v[18:19], v[54:55], s[24:25]
	v_mul_f64 v[205:206], v[54:55], s[42:43]
	v_mul_f64 v[54:55], v[54:55], s[44:45]
	v_mul_f64 v[207:208], v[56:57], s[28:29]
	v_mul_f64 v[211:212], v[56:57], s[38:39]
	v_mul_f64 v[213:214], v[56:57], s[16:17]
	v_mul_f64 v[215:216], v[56:57], s[42:43]
	v_mul_f64 v[217:218], v[56:57], s[36:37]
	v_mul_f64 v[56:57], v[56:57], s[18:19]
	v_mul_f64 v[219:220], v[72:73], s[22:23]
	v_mul_f64 v[221:222], v[72:73], s[36:37]
	v_add_f64 v[12:13], v[12:13], v[16:17]
	v_fma_f64 v[16:17], v[10:11], s[6:7], v[147:148]
	v_fma_f64 v[147:148], v[10:11], s[6:7], -v[147:148]
	v_fma_f64 v[10:11], v[10:11], s[14:15], -v[20:21]
	v_fma_f64 v[20:21], v[139:140], s[4:5], v[151:152]
	v_fma_f64 v[151:152], v[139:140], s[4:5], -v[151:152]
	v_fma_f64 v[139:140], v[141:142], s[10:11], v[161:162]
	v_fma_f64 v[161:162], v[141:142], s[10:11], -v[161:162]
	v_add_f64 v[14:15], v[0:1], v[14:15]
	v_add_f64 v[74:75], v[153:154], v[74:75]
	;; [unrolled: 1-line block ×4, first 2 shown]
	v_fma_f64 v[189:190], v[143:144], s[10:11], v[18:19]
	v_fma_f64 v[18:19], v[143:144], s[10:11], -v[18:19]
	v_fma_f64 v[191:192], v[143:144], s[14:15], v[205:206]
	v_mul_f64 v[223:224], v[72:73], s[28:29]
	v_mul_f64 v[225:226], v[72:73], s[44:45]
	;; [unrolled: 1-line block ×4, first 2 shown]
	v_fma_f64 v[159:160], v[86:87], s[10:11], v[211:212]
	s_waitcnt lgkmcnt(0)
	s_barrier
	v_add_f64 v[12:13], v[12:13], v[68:69]
	v_fma_f64 v[68:69], v[141:142], s[14:15], -v[163:164]
	v_fma_f64 v[163:164], v[141:142], s[6:7], v[165:166]
	v_fma_f64 v[165:166], v[141:142], s[6:7], -v[165:166]
	v_add_f64 v[141:142], v[0:1], v[229:230]
	v_add_f64 v[229:230], v[0:1], v[231:232]
	;; [unrolled: 1-line block ×9, first 2 shown]
	v_fma_f64 v[237:238], v[143:144], s[26:27], v[203:204]
	v_add_f64 v[149:150], v[169:170], v[149:150]
	v_fma_f64 v[203:204], v[143:144], s[26:27], -v[203:204]
	buffer_gl0_inv
	v_add_nc_u32_e32 v108, 0x2000, v196
	v_fma_f64 v[169:170], v[84:85], s[10:11], v[72:73]
	ds_read2_b64 v[6:9], v137 offset0:112 offset1:164
	ds_read2_b64 v[2:5], v138 offset0:88 offset1:140
	v_add_nc_u32_e32 v135, v199, v175
	v_add_f64 v[10:11], v[12:13], v[70:71]
	v_fma_f64 v[12:13], v[143:144], s[6:7], v[171:172]
	v_fma_f64 v[70:71], v[143:144], s[6:7], -v[171:172]
	v_fma_f64 v[171:172], v[143:144], s[20:21], v[201:202]
	v_add_f64 v[20:21], v[20:21], v[141:142]
	v_add_f64 v[141:142], v[239:240], v[229:230]
	;; [unrolled: 1-line block ×8, first 2 shown]
	v_fma_f64 v[22:23], v[143:144], s[14:15], -v[205:206]
	v_add_f64 v[14:15], v[161:162], v[14:15]
	v_add_f64 v[68:69], v[68:69], v[74:75]
	v_fma_f64 v[201:202], v[143:144], s[20:21], -v[201:202]
	v_fma_f64 v[157:158], v[86:87], s[20:21], -v[207:208]
	v_fma_f64 v[161:162], v[86:87], s[6:7], v[56:57]
	v_fma_f64 v[56:57], v[86:87], s[6:7], -v[56:57]
	v_fma_f64 v[205:206], v[86:87], s[10:11], -v[211:212]
	;; [unrolled: 1-line block ×3, first 2 shown]
	v_add_f64 v[10:11], v[10:11], v[80:81]
	v_fma_f64 v[80:81], v[143:144], s[4:5], v[54:55]
	v_fma_f64 v[54:55], v[143:144], s[4:5], -v[54:55]
	v_fma_f64 v[143:144], v[86:87], s[20:21], v[207:208]
	v_add_f64 v[20:21], v[139:140], v[20:21]
	v_add_f64 v[139:140], v[249:250], v[141:142]
	v_add_f64 v[74:75], v[163:164], v[151:152]
	v_add_f64 v[141:142], v[165:166], v[145:146]
	v_add_f64 v[145:146], v[167:168], v[147:148]
	v_add_f64 v[147:148], v[253:254], v[153:154]
	v_add_f64 v[151:152], v[187:188], v[155:156]
	v_add_f64 v[0:1], v[24:25], v[0:1]
	v_add_f64 v[16:17], v[251:252], v[16:17]
	v_fma_f64 v[207:208], v[86:87], s[4:5], v[213:214]
	v_fma_f64 v[153:154], v[86:87], s[26:27], v[217:218]
	v_fma_f64 v[155:156], v[86:87], s[26:27], -v[217:218]
	v_add_f64 v[14:15], v[70:71], v[14:15]
	v_add_f64 v[22:23], v[22:23], v[149:150]
	v_fma_f64 v[24:25], v[86:87], s[14:15], v[215:216]
	v_add_f64 v[68:69], v[201:202], v[68:69]
	v_fma_f64 v[163:164], v[84:85], s[14:15], -v[219:220]
	v_fma_f64 v[165:166], v[84:85], s[26:27], v[221:222]
	v_add_f64 v[10:11], v[10:11], v[82:83]
	v_fma_f64 v[82:83], v[86:87], s[14:15], -v[215:216]
	v_fma_f64 v[86:87], v[84:85], s[14:15], v[219:220]
	v_fma_f64 v[149:150], v[84:85], s[4:5], -v[225:226]
	v_add_f64 v[12:13], v[12:13], v[20:21]
	v_add_f64 v[20:21], v[171:172], v[139:140]
	;; [unrolled: 1-line block ×9, first 2 shown]
	v_fma_f64 v[141:142], v[84:85], s[20:21], v[223:224]
	v_fma_f64 v[145:146], v[84:85], s[20:21], -v[223:224]
	v_fma_f64 v[147:148], v[84:85], s[4:5], v[225:226]
	v_fma_f64 v[151:152], v[84:85], s[6:7], v[227:228]
	v_fma_f64 v[167:168], v[84:85], s[6:7], -v[227:228]
	v_add_f64 v[157:158], v[157:158], v[14:15]
	v_add_f64 v[171:172], v[205:206], v[68:69]
	;; [unrolled: 1-line block ×3, first 2 shown]
	v_fma_f64 v[92:93], v[84:85], s[26:27], -v[221:222]
	v_fma_f64 v[84:85], v[84:85], s[10:11], -v[72:73]
	v_add_f64 v[143:144], v[143:144], v[12:13]
	v_add_f64 v[159:160], v[159:160], v[20:21]
	;; [unrolled: 1-line block ×12, first 2 shown]
	ds_read_b64 v[68:69], v196
	ds_read_b64 v[56:57], v197
	;; [unrolled: 1-line block ×4, first 2 shown]
	ds_read2_b64 v[14:17], v136 offset0:64 offset1:116
	ds_read2_b64 v[10:13], v136 offset0:168 offset1:220
	ds_read_b64 v[70:71], v128
	ds_read_b64 v[72:73], v129
	;; [unrolled: 1-line block ×4, first 2 shown]
	ds_read2_b64 v[22:25], v108 offset0:16 offset1:68
	ds_read2_b64 v[18:21], v108 offset0:120 offset1:172
	v_add_f64 v[92:93], v[92:93], v[171:172]
	v_add_f64 v[143:144], v[86:87], v[143:144]
	;; [unrolled: 1-line block ×12, first 2 shown]
	ds_read_b64 v[82:83], v132
	ds_read_b64 v[84:85], v133
	;; [unrolled: 1-line block ×4, first 2 shown]
	s_waitcnt lgkmcnt(0)
	s_barrier
	buffer_gl0_inv
	ds_write2_b64 v210, v[159:160], v[141:142] offset0:8 offset1:12
	ds_write2_b64 v210, v[147:148], v[139:140] offset0:16 offset1:20
	;; [unrolled: 1-line block ×5, first 2 shown]
	ds_write2_b64 v210, v[126:127], v[143:144] offset1:4
	ds_write_b64 v210, v[157:158] offset:384
	s_and_saveexec_b32 s33, s0
	s_cbranch_execz .LBB0_21
; %bb.20:
	v_add_f64 v[92:93], v[96:97], v[36:37]
	v_add_f64 v[40:41], v[40:41], -v[94:95]
	v_add_f64 v[94:95], v[48:49], v[46:47]
	v_add_f64 v[42:43], v[42:43], -v[98:99]
	v_add_f64 v[50:51], v[50:51], -v[88:89]
	v_add_f64 v[88:89], v[26:27], v[44:45]
	s_mov_b32 s20, 0x42a4c3d2
	s_mov_b32 s19, 0xbfddbe06
	;; [unrolled: 1-line block ×9, first 2 shown]
	v_add_f64 v[36:37], v[36:37], v[78:79]
	s_mov_b32 s29, 0xbfcea1e5
	v_add_f64 v[60:61], v[62:63], -v[60:61]
	s_mov_b32 s0, 0xe00740e9
	s_mov_b32 s6, 0x1ea71119
	;; [unrolled: 1-line block ×4, first 2 shown]
	v_add_f64 v[92:93], v[92:93], v[38:39]
	s_mov_b32 s7, 0x3fe22d96
	s_mov_b32 s5, 0x3fbedb7d
	v_mul_f64 v[62:63], v[42:43], s[18:19]
	v_mul_f64 v[98:99], v[42:43], s[24:25]
	;; [unrolled: 1-line block ×4, first 2 shown]
	s_mov_b32 s10, 0xb2365da1
	s_mov_b32 s14, 0xd0032e0c
	;; [unrolled: 1-line block ×10, first 2 shown]
	v_add_f64 v[38:39], v[38:39], v[76:77]
	v_add_f64 v[52:53], v[52:53], -v[66:67]
	v_add_f64 v[66:67], v[34:35], v[30:31]
	v_mul_f64 v[141:142], v[40:41], s[20:21]
	v_mul_f64 v[143:144], v[40:41], s[22:23]
	v_add_f64 v[48:49], v[92:93], v[48:49]
	v_mul_f64 v[92:93], v[42:43], s[20:21]
	v_mul_f64 v[42:43], v[42:43], s[28:29]
	;; [unrolled: 1-line block ×6, first 2 shown]
	v_fma_f64 v[211:212], v[36:37], s[0:1], v[62:63]
	v_fma_f64 v[213:214], v[36:37], s[4:5], v[98:99]
	v_fma_f64 v[98:99], v[36:37], s[4:5], -v[98:99]
	v_fma_f64 v[215:216], v[36:37], s[10:11], v[126:127]
	v_fma_f64 v[217:218], v[36:37], s[14:15], v[139:140]
	v_fma_f64 v[126:127], v[36:37], s[10:11], -v[126:127]
	v_fma_f64 v[139:140], v[36:37], s[14:15], -v[139:140]
	s_mov_b32 s37, 0x3fedeba7
	s_mov_b32 s36, s22
	v_mul_f64 v[151:152], v[50:51], s[24:25]
	v_mul_f64 v[153:154], v[50:51], s[28:29]
	;; [unrolled: 1-line block ×5, first 2 shown]
	v_fma_f64 v[221:222], v[38:39], s[10:11], v[143:144]
	v_add_f64 v[26:27], v[48:49], v[26:27]
	v_fma_f64 v[143:144], v[38:39], s[10:11], -v[143:144]
	v_fma_f64 v[219:220], v[36:37], s[16:17], v[42:43]
	v_fma_f64 v[223:224], v[38:39], s[16:17], v[145:146]
	v_fma_f64 v[145:146], v[38:39], s[16:17], -v[145:146]
	v_fma_f64 v[225:226], v[38:39], s[14:15], v[147:148]
	v_fma_f64 v[147:148], v[38:39], s[14:15], -v[147:148]
	;; [unrolled: 2-line block ×3, first 2 shown]
	v_fma_f64 v[235:236], v[38:39], s[0:1], v[40:41]
	v_mul_f64 v[50:51], v[50:51], s[18:19]
	v_add_f64 v[98:99], v[96:97], v[98:99]
	v_add_f64 v[126:127], v[96:97], v[126:127]
	;; [unrolled: 1-line block ×3, first 2 shown]
	s_mov_b32 s39, 0x3fcea1e5
	s_mov_b32 s41, 0x3fea55e2
	;; [unrolled: 1-line block ×4, first 2 shown]
	v_add_f64 v[58:59], v[58:59], -v[64:65]
	v_add_f64 v[64:65], v[32:33], v[28:29]
	v_mul_f64 v[48:49], v[52:53], s[22:23]
	v_mul_f64 v[161:162], v[52:53], s[34:35]
	v_add_f64 v[26:27], v[26:27], v[34:35]
	v_fma_f64 v[34:35], v[36:37], s[0:1], -v[62:63]
	v_fma_f64 v[62:63], v[36:37], s[6:7], v[92:93]
	v_fma_f64 v[92:93], v[36:37], s[6:7], -v[92:93]
	v_fma_f64 v[36:37], v[36:37], s[16:17], -v[42:43]
	v_fma_f64 v[42:43], v[38:39], s[6:7], v[141:142]
	v_fma_f64 v[141:142], v[38:39], s[6:7], -v[141:142]
	v_fma_f64 v[38:39], v[38:39], s[0:1], -v[40:41]
	v_add_f64 v[40:41], v[96:97], v[211:212]
	v_add_f64 v[211:212], v[96:97], v[213:214]
	;; [unrolled: 1-line block ×5, first 2 shown]
	v_mul_f64 v[163:164], v[52:53], s[24:25]
	v_mul_f64 v[165:166], v[52:53], s[38:39]
	;; [unrolled: 1-line block ×4, first 2 shown]
	v_fma_f64 v[229:230], v[94:95], s[16:17], v[153:154]
	v_fma_f64 v[153:154], v[94:95], s[16:17], -v[153:154]
	v_fma_f64 v[231:232], v[94:95], s[10:11], v[155:156]
	v_fma_f64 v[155:156], v[94:95], s[10:11], -v[155:156]
	v_fma_f64 v[233:234], v[94:95], s[6:7], v[157:158]
	v_add_f64 v[26:27], v[26:27], v[32:33]
	v_add_f64 v[34:35], v[96:97], v[34:35]
	;; [unrolled: 1-line block ×5, first 2 shown]
	v_fma_f64 v[32:33], v[94:95], s[4:5], v[151:152]
	v_fma_f64 v[151:152], v[94:95], s[4:5], -v[151:152]
	v_fma_f64 v[157:158], v[94:95], s[6:7], -v[157:158]
	v_add_f64 v[40:41], v[42:43], v[40:41]
	v_fma_f64 v[239:240], v[94:95], s[0:1], v[50:51]
	v_fma_f64 v[50:51], v[94:95], s[0:1], -v[50:51]
	v_add_f64 v[126:127], v[147:148], v[126:127]
	v_add_f64 v[139:140], v[149:150], v[139:140]
	v_mul_f64 v[171:172], v[58:59], s[30:31]
	v_mul_f64 v[187:188], v[58:59], s[20:21]
	v_fma_f64 v[96:97], v[88:89], s[14:15], v[161:162]
	v_fma_f64 v[161:162], v[88:89], s[14:15], -v[161:162]
	v_fma_f64 v[149:150], v[88:89], s[6:7], v[167:168]
	v_mul_f64 v[169:170], v[58:59], s[26:27]
	v_mul_f64 v[189:190], v[58:59], s[38:39]
	;; [unrolled: 1-line block ×4, first 2 shown]
	v_add_f64 v[26:27], v[26:27], v[28:29]
	v_fma_f64 v[28:29], v[94:95], s[14:15], v[159:160]
	v_add_f64 v[42:43], v[221:222], v[62:63]
	v_add_f64 v[62:63], v[143:144], v[92:93]
	;; [unrolled: 1-line block ×3, first 2 shown]
	v_fma_f64 v[159:160], v[94:95], s[14:15], -v[159:160]
	v_add_f64 v[94:95], v[145:146], v[98:99]
	v_add_f64 v[98:99], v[225:226], v[213:214]
	;; [unrolled: 1-line block ×6, first 2 shown]
	v_fma_f64 v[141:142], v[88:89], s[6:7], -v[167:168]
	v_fma_f64 v[167:168], v[88:89], s[0:1], v[52:53]
	v_add_f64 v[32:33], v[32:33], v[40:41]
	v_fma_f64 v[219:220], v[88:89], s[10:11], v[48:49]
	v_fma_f64 v[48:49], v[88:89], s[10:11], -v[48:49]
	v_fma_f64 v[237:238], v[88:89], s[4:5], v[163:164]
	v_fma_f64 v[38:39], v[88:89], s[16:17], v[165:166]
	v_fma_f64 v[147:148], v[88:89], s[16:17], -v[165:166]
	v_fma_f64 v[52:53], v[88:89], s[0:1], -v[52:53]
	v_add_f64 v[50:51], v[50:51], v[126:127]
	v_add_f64 v[26:27], v[26:27], v[30:31]
	v_fma_f64 v[30:31], v[88:89], s[4:5], -v[163:164]
	v_add_f64 v[40:41], v[229:230], v[42:43]
	v_add_f64 v[42:43], v[153:154], v[62:63]
	v_add_f64 v[62:63], v[231:232], v[92:93]
	v_mul_f64 v[201:202], v[60:61], s[28:29]
	v_add_f64 v[88:89], v[155:156], v[94:95]
	v_add_f64 v[92:93], v[239:240], v[98:99]
	;; [unrolled: 1-line block ×7, first 2 shown]
	v_mul_f64 v[203:204], v[60:61], s[26:27]
	v_mul_f64 v[205:206], v[60:61], s[40:41]
	;; [unrolled: 1-line block ×5, first 2 shown]
	v_fma_f64 v[165:166], v[66:67], s[4:5], v[171:172]
	v_fma_f64 v[126:127], v[66:67], s[6:7], v[187:188]
	;; [unrolled: 1-line block ×4, first 2 shown]
	v_add_f64 v[26:27], v[26:27], v[44:45]
	v_fma_f64 v[44:45], v[66:67], s[4:5], -v[171:172]
	v_add_f64 v[40:41], v[96:97], v[40:41]
	v_add_f64 v[42:43], v[161:162], v[42:43]
	;; [unrolled: 1-line block ×3, first 2 shown]
	v_fma_f64 v[151:152], v[66:67], s[10:11], v[191:192]
	v_add_f64 v[52:53], v[52:53], v[88:89]
	v_add_f64 v[88:89], v[237:238], v[92:93]
	;; [unrolled: 1-line block ×3, first 2 shown]
	v_fma_f64 v[153:154], v[66:67], s[10:11], -v[191:192]
	v_fma_f64 v[58:59], v[66:67], s[0:1], -v[58:59]
	v_add_f64 v[30:31], v[30:31], v[50:51]
	v_add_f64 v[50:51], v[147:148], v[98:99]
	;; [unrolled: 1-line block ×4, first 2 shown]
	v_fma_f64 v[145:146], v[66:67], s[16:17], -v[189:190]
	v_fma_f64 v[139:140], v[66:67], s[6:7], -v[187:188]
	v_fma_f64 v[163:164], v[66:67], s[14:15], v[169:170]
	v_add_f64 v[32:33], v[219:220], v[32:33]
	v_add_f64 v[34:35], v[48:49], v[34:35]
	v_fma_f64 v[92:93], v[64:65], s[14:15], v[203:204]
	v_fma_f64 v[141:142], v[64:65], s[0:1], v[60:61]
	v_add_f64 v[26:27], v[26:27], v[46:47]
	v_fma_f64 v[46:47], v[66:67], s[14:15], -v[169:170]
	v_add_f64 v[40:41], v[165:166], v[40:41]
	v_add_f64 v[42:43], v[44:45], v[42:43]
	;; [unrolled: 1-line block ×3, first 2 shown]
	v_fma_f64 v[94:95], v[64:65], s[6:7], v[205:206]
	v_fma_f64 v[96:97], v[64:65], s[10:11], v[207:208]
	v_add_f64 v[62:63], v[143:144], v[88:89]
	v_add_f64 v[38:39], v[155:156], v[38:39]
	v_fma_f64 v[98:99], v[64:65], s[4:5], v[209:210]
	v_fma_f64 v[48:49], v[64:65], s[6:7], -v[205:206]
	v_fma_f64 v[60:61], v[64:65], s[0:1], -v[60:61]
	v_add_f64 v[50:51], v[58:59], v[50:51]
	v_add_f64 v[28:29], v[151:152], v[28:29]
	;; [unrolled: 1-line block ×3, first 2 shown]
	v_fma_f64 v[58:59], v[64:65], s[4:5], -v[209:210]
	v_add_f64 v[30:31], v[145:146], v[30:31]
	v_add_f64 v[52:53], v[139:140], v[52:53]
	v_fma_f64 v[88:89], v[64:65], s[14:15], -v[203:204]
	v_fma_f64 v[66:67], v[64:65], s[16:17], v[201:202]
	v_add_f64 v[32:33], v[163:164], v[32:33]
	v_mul_lo_u32 v101, v174, 52
	v_add_f64 v[26:27], v[26:27], v[76:77]
	v_fma_f64 v[76:77], v[64:65], s[10:11], -v[207:208]
	v_fma_f64 v[64:65], v[64:65], s[16:17], -v[201:202]
	v_add_f64 v[34:35], v[46:47], v[34:35]
	v_add_f64 v[40:41], v[141:142], v[40:41]
	;; [unrolled: 1-line block ×14, first 2 shown]
	v_or_b32_e32 v52, v101, v200
	v_lshl_add_u32 v52, v52, 3, 0
	ds_write2_b64 v52, v[40:41], v[44:45] offset0:8 offset1:12
	ds_write2_b64 v52, v[46:47], v[38:39] offset0:16 offset1:20
	;; [unrolled: 1-line block ×5, first 2 shown]
	ds_write2_b64 v52, v[26:27], v[32:33] offset1:4
	ds_write_b64 v52, v[34:35] offset:384
.LBB0_21:
	s_or_b32 exec_lo, exec_lo, s33
	v_and_b32_e32 v28, 0xff, v118
	v_and_b32_e32 v29, 0xff, v116
	v_mov_b32_e32 v38, 0x4ec5
	v_mov_b32_e32 v101, 0
	s_waitcnt lgkmcnt(0)
	v_mul_lo_u16 v30, 0x4f, v28
	v_mul_lo_u16 v31, 0x4f, v29
	v_mul_u32_u24_sdwa v53, v114, v38 dst_sel:DWORD dst_unused:UNUSED_PAD src0_sel:WORD_0 src1_sel:DWORD
	v_mul_u32_u24_sdwa v110, v112, v38 dst_sel:DWORD dst_unused:UNUSED_PAD src0_sel:WORD_0 src1_sel:DWORD
	;; [unrolled: 1-line block ×3, first 2 shown]
	v_lshrrev_b16 v30, 12, v30
	v_lshrrev_b16 v31, 12, v31
	v_lshrrev_b32_e32 v32, 20, v53
	v_lshrrev_b32_e32 v33, 20, v110
	;; [unrolled: 1-line block ×3, first 2 shown]
	v_mul_lo_u16 v30, v30, 52
	v_mul_lo_u16 v31, v31, 52
	;; [unrolled: 1-line block ×4, first 2 shown]
	v_lshlrev_b64 v[26:27], 4, v[100:101]
	v_sub_nc_u16 v30, v118, v30
	v_sub_nc_u16 v31, v116, v31
	;; [unrolled: 1-line block ×4, first 2 shown]
	v_mul_lo_u16 v34, v34, 52
	v_and_b32_e32 v115, 0xff, v30
	v_and_b32_e32 v117, 0xff, v31
	;; [unrolled: 1-line block ×3, first 2 shown]
	v_add_co_u32 v40, s0, s8, v26
	v_and_b32_e32 v175, 0xffff, v33
	v_add_co_ci_u32_e64 v41, s0, s9, v27, s0
	v_sub_nc_u16 v30, v104, v34
	v_lshlrev_b32_e32 v31, 4, v115
	v_mul_u32_u24_sdwa v50, v105, v38 dst_sel:DWORD dst_unused:UNUSED_PAD src0_sel:WORD_0 src1_sel:DWORD
	v_lshlrev_b32_e32 v34, 4, v117
	v_lshlrev_b32_e32 v39, 4, v119
	;; [unrolled: 1-line block ×3, first 2 shown]
	s_barrier
	buffer_gl0_inv
	global_load_dwordx4 v[26:29], v[40:41], off offset:800
	v_and_b32_e32 v201, 0xffff, v30
	s_clause 0x3
	global_load_dwordx4 v[30:33], v31, s[8:9] offset:800
	global_load_dwordx4 v[34:37], v34, s[8:9] offset:800
	;; [unrolled: 1-line block ×4, first 2 shown]
	v_lshrrev_b32_e32 v46, 20, v50
	v_mul_u32_u24_sdwa v47, v106, v38 dst_sel:DWORD dst_unused:UNUSED_PAD src0_sel:WORD_0 src1_sel:DWORD
	v_mul_u32_u24_sdwa v48, v107, v38 dst_sel:DWORD dst_unused:UNUSED_PAD src0_sel:WORD_0 src1_sel:DWORD
	;; [unrolled: 1-line block ×4, first 2 shown]
	v_mul_lo_u16 v46, v46, 52
	v_lshrrev_b32_e32 v47, 20, v47
	v_lshrrev_b32_e32 v48, 20, v48
	;; [unrolled: 1-line block ×4, first 2 shown]
	v_sub_nc_u16 v46, v105, v46
	v_mul_lo_u16 v47, v47, 52
	v_mul_lo_u16 v48, v48, 52
	;; [unrolled: 1-line block ×4, first 2 shown]
	v_and_b32_e32 v202, 0xffff, v46
	v_sub_nc_u16 v46, v106, v47
	v_sub_nc_u16 v47, v107, v48
	;; [unrolled: 1-line block ×4, first 2 shown]
	v_lshlrev_b32_e32 v39, 4, v201
	v_and_b32_e32 v203, 0xffff, v46
	v_and_b32_e32 v204, 0xffff, v47
	v_lshlrev_b32_e32 v49, 4, v202
	v_and_b32_e32 v205, 0xffff, v48
	v_and_b32_e32 v206, 0xffff, v38
	v_lshlrev_b32_e32 v38, 4, v203
	s_clause 0x1
	global_load_dwordx4 v[62:65], v39, s[8:9] offset:800
	global_load_dwordx4 v[76:79], v49, s[8:9] offset:800
	v_lshlrev_b32_e32 v39, 4, v204
	v_lshlrev_b32_e32 v46, 4, v205
	;; [unrolled: 1-line block ×3, first 2 shown]
	s_clause 0x3
	global_load_dwordx4 v[92:95], v38, s[8:9] offset:800
	global_load_dwordx4 v[96:99], v39, s[8:9] offset:800
	;; [unrolled: 1-line block ×4, first 2 shown]
	v_lshrrev_b32_e32 v53, 21, v53
	ds_read2_b64 v[147:150], v137 offset0:112 offset1:164
	ds_read_b64 v[38:39], v196
	ds_read_b64 v[46:47], v197
	;; [unrolled: 1-line block ×3, first 2 shown]
	ds_read2_b64 v[151:154], v138 offset0:88 offset1:140
	ds_read2_b64 v[155:158], v136 offset0:64 offset1:116
	ds_read_b64 v[66:67], v125
	ds_read_b64 v[88:89], v128
	;; [unrolled: 1-line block ×4, first 2 shown]
	ds_read2_b64 v[159:162], v136 offset0:168 offset1:220
	ds_read2_b64 v[163:166], v108 offset0:16 offset1:68
	ds_read_b64 v[173:174], v131
	ds_read_b64 v[187:188], v132
	;; [unrolled: 1-line block ×4, first 2 shown]
	ds_read2_b64 v[167:170], v108 offset0:120 offset1:172
	ds_read_b64 v[199:200], v135
	v_mov_b32_e32 v122, v101
	v_mov_b32_e32 v124, v101
	v_lshrrev_b32_e32 v110, 21, v110
	v_mul_lo_u16 v53, 0x68, v53
	v_lshrrev_b32_e32 v113, 21, v113
	v_lshlrev_b64 v[121:122], 4, v[121:122]
	v_lshlrev_b64 v[123:124], 4, v[123:124]
	v_mul_lo_u16 v110, 0x68, v110
	v_sub_nc_u16 v227, v114, v53
	v_lshl_add_u32 v53, v115, 3, 0
	v_lshl_add_u32 v115, v117, 3, 0
	;; [unrolled: 1-line block ×10, first 2 shown]
	v_add_nc_u32_e32 v229, 0x1400, v201
	v_add_nc_u32_e32 v230, 0x1800, v202
	;; [unrolled: 1-line block ×6, first 2 shown]
	v_add_co_u32 v121, s0, s8, v121
	v_add_co_ci_u32_e64 v122, s0, s9, v122, s0
	v_add_co_u32 v123, s0, s8, v123
	v_add_co_ci_u32_e64 v124, s0, s9, v124, s0
	v_add_nc_u32_e32 v48, 0xc00, v196
	v_add_nc_u32_e32 v115, 0x800, v115
	;; [unrolled: 1-line block ×4, first 2 shown]
	s_waitcnt vmcnt(0) lgkmcnt(0)
	s_barrier
	buffer_gl0_inv
	v_add_nc_u32_e32 v119, 0x1000, v119
	v_add_nc_u32_e32 v175, 0x1000, v175
	v_lshrrev_b32_e32 v50, 21, v50
	s_mov_b32 s4, 0xe8584caa
	s_mov_b32 s5, 0x3febb67a
	;; [unrolled: 1-line block ×4, first 2 shown]
	v_mul_lo_u16 v50, 0x68, v50
	v_sub_nc_u16 v50, v105, v50
	v_and_b32_e32 v50, 0xffff, v50
	v_lshl_add_u32 v244, v50, 3, 0
	v_add_nc_u32_e32 v248, 0x1c00, v244
	v_mul_f64 v[207:208], v[151:152], v[32:33]
	v_mul_f64 v[201:202], v[147:148], v[28:29]
	;; [unrolled: 1-line block ×12, first 2 shown]
	v_fma_f64 v[2:3], v[2:3], v[30:31], -v[207:208]
	v_fma_f64 v[6:7], v[6:7], v[26:27], -v[201:202]
	v_fma_f64 v[147:148], v[147:148], v[26:27], v[203:204]
	v_fma_f64 v[8:9], v[8:9], v[26:27], -v[205:206]
	v_fma_f64 v[26:27], v[149:150], v[26:27], v[28:29]
	v_fma_f64 v[28:29], v[151:152], v[30:31], v[32:33]
	v_fma_f64 v[4:5], v[4:5], v[34:35], -v[209:210]
	v_fma_f64 v[30:31], v[153:154], v[34:35], v[36:37]
	v_mul_f64 v[215:216], v[159:160], v[64:65]
	v_mul_f64 v[64:65], v[10:11], v[64:65]
	;; [unrolled: 1-line block ×12, first 2 shown]
	v_fma_f64 v[14:15], v[14:15], v[42:43], -v[211:212]
	v_fma_f64 v[32:33], v[155:156], v[42:43], v[44:45]
	v_fma_f64 v[16:17], v[16:17], v[58:59], -v[213:214]
	v_fma_f64 v[34:35], v[157:158], v[58:59], v[60:61]
	v_add_f64 v[6:7], v[68:69], -v[6:7]
	v_add_f64 v[8:9], v[56:57], -v[8:9]
	;; [unrolled: 1-line block ×4, first 2 shown]
	v_fma_f64 v[10:11], v[10:11], v[62:63], -v[215:216]
	v_fma_f64 v[36:37], v[159:160], v[62:63], v[64:65]
	v_fma_f64 v[12:13], v[12:13], v[76:77], -v[217:218]
	v_fma_f64 v[42:43], v[161:162], v[76:77], v[78:79]
	;; [unrolled: 2-line block ×6, first 2 shown]
	v_add_f64 v[64:65], v[38:39], -v[147:148]
	v_add_f64 v[76:77], v[46:47], -v[26:27]
	;; [unrolled: 1-line block ×8, first 2 shown]
	v_fma_f64 v[26:27], v[68:69], 2.0, -v[6:7]
	v_fma_f64 v[28:29], v[56:57], 2.0, -v[8:9]
	v_add_f64 v[10:11], v[74:75], -v[10:11]
	v_add_f64 v[98:99], v[171:172], -v[36:37]
	;; [unrolled: 1-line block ×12, first 2 shown]
	v_fma_f64 v[68:69], v[38:39], 2.0, -v[64:65]
	v_fma_f64 v[56:57], v[46:47], 2.0, -v[76:77]
	;; [unrolled: 1-line block ×22, first 2 shown]
	ds_write2_b64 v196, v[26:27], v[6:7] offset1:52
	ds_write2_b64 v196, v[28:29], v[8:9] offset0:104 offset1:156
	ds_write2_b64 v228, v[0:1], v[2:3] offset0:80 offset1:132
	;; [unrolled: 1-line block ×11, first 2 shown]
	s_waitcnt lgkmcnt(0)
	s_barrier
	buffer_gl0_inv
	ds_read_b64 v[38:39], v196
	ds_read2_b64 v[0:3], v136 offset0:12 offset1:64
	ds_read2_b64 v[24:27], v48 offset0:84 offset1:136
	;; [unrolled: 1-line block ×7, first 2 shown]
	ds_read_b64 v[36:37], v125
	ds_read_b64 v[34:35], v128
	;; [unrolled: 1-line block ×8, first 2 shown]
	ds_read_b64 v[46:47], v196 offset:9568
	s_waitcnt lgkmcnt(0)
	s_barrier
	buffer_gl0_inv
	ds_write2_b64 v196, v[68:69], v[64:65] offset1:52
	ds_write2_b64 v196, v[56:57], v[76:77] offset0:104 offset1:156
	ds_write2_b64 v228, v[51:52], v[78:79] offset0:80 offset1:132
	;; [unrolled: 1-line block ×11, first 2 shown]
	s_waitcnt lgkmcnt(0)
	s_barrier
	buffer_gl0_inv
	s_clause 0x1
	global_load_dwordx4 v[51:54], v[121:122], off offset:1632
	global_load_dwordx4 v[55:58], v[123:124], off offset:1632
	v_mul_lo_u16 v63, 0x68, v113
	v_sub_nc_u16 v64, v112, v110
	v_and_b32_e32 v65, 0xffff, v227
	s_clause 0x1
	global_load_dwordx4 v[59:62], v[121:122], off offset:1648
	global_load_dwordx4 v[76:79], v[123:124], off offset:1648
	v_sub_nc_u16 v63, v104, v63
	v_and_b32_e32 v110, 0xffff, v64
	v_lshlrev_b32_e32 v64, 5, v65
	v_mov_b32_e32 v119, v101
	v_mov_b32_e32 v117, v101
	;; [unrolled: 1-line block ×4, first 2 shown]
	global_load_dwordx4 v[80:83], v64, s[8:9] offset:1632
	v_and_b32_e32 v122, 0xffff, v63
	v_lshlrev_b32_e32 v63, 5, v110
	s_clause 0x1
	global_load_dwordx4 v[84:87], v64, s[8:9] offset:1648
	global_load_dwordx4 v[88:91], v63, s[8:9] offset:1632
	v_lshlrev_b32_e32 v64, 5, v122
	global_load_dwordx4 v[92:95], v63, s[8:9] offset:1648
	v_mov_b32_e32 v121, v101
	v_lshlrev_b64 v[68:69], 4, v[118:119]
	v_lshlrev_b64 v[70:71], 4, v[116:117]
	global_load_dwordx4 v[96:99], v64, s[8:9] offset:1632
	v_lshlrev_b32_e32 v63, 5, v50
	s_clause 0x2
	global_load_dwordx4 v[139:142], v64, s[8:9] offset:1648
	global_load_dwordx4 v[143:146], v63, s[8:9] offset:1632
	;; [unrolled: 1-line block ×3, first 2 shown]
	v_lshlrev_b64 v[63:64], 4, v[120:121]
	v_lshlrev_b64 v[72:73], 4, v[114:115]
	;; [unrolled: 1-line block ×3, first 2 shown]
	v_lshl_add_u32 v243, v122, 3, 0
	ds_read_b64 v[187:188], v132
	ds_read2_b64 v[112:115], v48 offset0:84 offset1:136
	ds_read_b64 v[189:190], v196
	ds_read2_b64 v[116:119], v136 offset0:12 offset1:64
	ds_read2_b64 v[120:123], v136 offset0:116 offset1:168
	;; [unrolled: 1-line block ×6, first 2 shown]
	ds_read_b64 v[48:49], v125
	ds_read_b64 v[191:192], v128
	;; [unrolled: 1-line block ×7, first 2 shown]
	ds_read_b64 v[209:210], v196 offset:9568
	v_add_co_u32 v167, s0, 0x1000, v40
	v_add_co_ci_u32_e64 v168, s0, 0, v41, s0
	v_add_co_u32 v66, s0, s8, v63
	v_add_co_ci_u32_e64 v67, s0, s9, v64, s0
	;; [unrolled: 2-line block ×8, first 2 shown]
	v_add_co_u32 v171, s0, 0x1000, v70
	v_lshl_add_u32 v65, v65, 3, 0
	v_lshl_add_u32 v110, v110, 3, 0
	v_add_co_ci_u32_e64 v172, s0, 0, v71, s0
	v_add_co_u32 v173, s0, 0x1000, v72
	v_add_nc_u32_e32 v124, 0x800, v196
	v_add_co_ci_u32_e64 v174, s0, 0, v73, s0
	v_add_nc_u32_e32 v175, 0x800, v197
	v_add_nc_u32_e32 v245, 0x1000, v65
	;; [unrolled: 1-line block ×4, first 2 shown]
	s_waitcnt vmcnt(0) lgkmcnt(0)
	s_barrier
	buffer_gl0_inv
	v_mul_f64 v[211:212], v[187:188], v[53:54]
	v_mul_f64 v[213:214], v[112:113], v[57:58]
	v_mul_f64 v[215:216], v[114:115], v[53:54]
	v_mul_f64 v[217:218], v[126:127], v[53:54]
	v_mul_f64 v[53:54], v[26:27], v[53:54]
	v_mul_f64 v[219:220], v[118:119], v[61:62]
	v_mul_f64 v[221:222], v[2:3], v[61:62]
	v_mul_f64 v[223:224], v[24:25], v[57:58]
	v_mul_f64 v[225:226], v[120:121], v[78:79]
	v_mul_f64 v[227:228], v[20:21], v[78:79]
	v_mul_f64 v[229:230], v[122:123], v[61:62]
	v_mul_f64 v[61:62], v[22:23], v[61:62]
	v_mul_f64 v[231:232], v[151:152], v[57:58]
	v_mul_f64 v[57:58], v[16:17], v[57:58]
	v_mul_f64 v[233:234], v[155:156], v[78:79]
	v_mul_f64 v[78:79], v[12:13], v[78:79]
	v_mul_f64 v[235:236], v[153:154], v[82:83]
	v_mul_f64 v[82:83], v[18:19], v[82:83]
	v_mul_f64 v[237:238], v[157:158], v[86:87]
	v_mul_f64 v[86:87], v[14:15], v[86:87]
	v_mul_f64 v[239:240], v[159:160], v[90:91]
	v_mul_f64 v[90:91], v[8:9], v[90:91]
	v_mul_f64 v[241:242], v[163:164], v[94:95]
	v_mul_f64 v[94:95], v[4:5], v[94:95]
	v_fma_f64 v[24:25], v[24:25], v[55:56], -v[213:214]
	v_fma_f64 v[26:27], v[26:27], v[51:52], -v[215:216]
	v_mul_f64 v[213:214], v[161:162], v[98:99]
	v_fma_f64 v[126:127], v[126:127], v[51:52], -v[211:212]
	v_mul_f64 v[98:99], v[10:11], v[98:99]
	v_fma_f64 v[187:188], v[187:188], v[51:52], v[217:218]
	v_mul_f64 v[211:212], v[165:166], v[141:142]
	v_fma_f64 v[50:51], v[114:115], v[51:52], v[53:54]
	v_mul_f64 v[52:53], v[6:7], v[141:142]
	v_mul_f64 v[114:115], v[116:117], v[145:146]
	;; [unrolled: 1-line block ×5, first 2 shown]
	v_fma_f64 v[2:3], v[2:3], v[59:60], -v[219:220]
	v_fma_f64 v[118:119], v[118:119], v[59:60], v[221:222]
	v_fma_f64 v[112:113], v[112:113], v[55:56], v[223:224]
	v_fma_f64 v[20:21], v[20:21], v[76:77], -v[225:226]
	v_fma_f64 v[120:121], v[120:121], v[76:77], v[227:228]
	v_fma_f64 v[22:23], v[22:23], v[59:60], -v[229:230]
	;; [unrolled: 2-line block ×12, first 2 shown]
	v_fma_f64 v[86:87], v[209:210], v[147:148], v[149:150]
	v_add_f64 v[90:91], v[126:127], v[2:3]
	v_add_f64 v[96:97], v[187:188], v[118:119]
	;; [unrolled: 1-line block ×3, first 2 shown]
	v_add_f64 v[98:99], v[126:127], -v[2:3]
	v_add_f64 v[116:117], v[24:25], v[20:21]
	v_add_f64 v[122:123], v[112:113], -v[120:121]
	v_add_f64 v[126:127], v[207:208], v[112:113]
	v_add_f64 v[112:113], v[112:113], v[120:121]
	v_add_f64 v[141:142], v[26:27], v[22:23]
	v_add_f64 v[143:144], v[50:51], -v[59:60]
	v_add_f64 v[145:146], v[205:206], v[50:51]
	v_add_f64 v[50:51], v[50:51], v[59:60]
	;; [unrolled: 4-line block ×4, first 2 shown]
	v_add_f64 v[92:93], v[187:188], -v[118:119]
	v_add_f64 v[94:95], v[189:190], v[187:188]
	v_add_f64 v[165:166], v[8:9], v[4:5]
	v_add_f64 v[187:188], v[78:79], -v[80:81]
	v_add_f64 v[209:210], v[199:200], v[78:79]
	v_add_f64 v[78:79], v[78:79], v[80:81]
	v_add_f64 v[213:214], v[10:11], v[6:7]
	v_add_f64 v[215:216], v[82:83], -v[52:53]
	v_add_f64 v[217:218], v[201:202], v[82:83]
	;; [unrolled: 4-line block ×3, first 2 shown]
	v_add_f64 v[84:85], v[84:85], v[86:87]
	v_fma_f64 v[38:39], v[90:91], -0.5, v[38:39]
	v_fma_f64 v[90:91], v[96:97], -0.5, v[189:190]
	v_add_f64 v[114:115], v[44:45], v[24:25]
	v_add_f64 v[24:25], v[24:25], -v[20:21]
	v_fma_f64 v[44:45], v[116:117], -0.5, v[44:45]
	v_fma_f64 v[96:97], v[112:113], -0.5, v[207:208]
	v_add_f64 v[139:140], v[42:43], v[26:27]
	v_add_f64 v[26:27], v[26:27], -v[22:23]
	;; [unrolled: 4-line block ×4, first 2 shown]
	v_add_f64 v[58:59], v[145:146], v[59:60]
	v_fma_f64 v[34:35], v[157:158], -0.5, v[34:35]
	v_fma_f64 v[60:61], v[61:62], -0.5, v[191:192]
	v_add_f64 v[163:164], v[32:33], v[8:9]
	v_add_f64 v[8:9], v[8:9], -v[4:5]
	v_fma_f64 v[32:33], v[165:166], -0.5, v[32:33]
	v_fma_f64 v[78:79], v[78:79], -0.5, v[199:200]
	v_add_f64 v[211:212], v[30:31], v[10:11]
	v_add_f64 v[10:11], v[10:11], -v[6:7]
	v_add_f64 v[54:55], v[161:162], v[76:77]
	v_add_f64 v[76:77], v[209:210], v[80:81]
	v_fma_f64 v[30:31], v[213:214], -0.5, v[30:31]
	v_fma_f64 v[80:81], v[82:83], -0.5, v[201:202]
	v_add_f64 v[219:220], v[28:29], v[0:1]
	v_add_f64 v[0:1], v[0:1], -v[46:47]
	v_fma_f64 v[28:29], v[221:222], -0.5, v[28:29]
	v_fma_f64 v[84:85], v[84:85], -0.5, v[203:204]
	v_add_f64 v[2:3], v[88:89], v[2:3]
	v_add_f64 v[88:89], v[94:95], v[118:119]
	;; [unrolled: 1-line block ×3, first 2 shown]
	v_fma_f64 v[86:87], v[92:93], s[4:5], v[38:39]
	v_fma_f64 v[38:39], v[92:93], s[6:7], v[38:39]
	;; [unrolled: 1-line block ×4, first 2 shown]
	v_add_f64 v[20:21], v[114:115], v[20:21]
	v_add_f64 v[94:95], v[126:127], v[120:121]
	v_fma_f64 v[98:99], v[122:123], s[4:5], v[44:45]
	v_fma_f64 v[112:113], v[24:25], s[6:7], v[96:97]
	;; [unrolled: 1-line block ×4, first 2 shown]
	v_add_f64 v[22:23], v[139:140], v[22:23]
	v_fma_f64 v[96:97], v[143:144], s[4:5], v[42:43]
	v_fma_f64 v[114:115], v[26:27], s[6:7], v[50:51]
	;; [unrolled: 1-line block ×4, first 2 shown]
	v_add_f64 v[12:13], v[147:148], v[12:13]
	v_add_f64 v[56:57], v[153:154], v[56:57]
	v_fma_f64 v[50:51], v[151:152], s[4:5], v[36:37]
	v_fma_f64 v[116:117], v[16:17], s[6:7], v[48:49]
	v_fma_f64 v[36:37], v[151:152], s[6:7], v[36:37]
	v_fma_f64 v[48:49], v[16:17], s[4:5], v[48:49]
	v_add_f64 v[14:15], v[155:156], v[14:15]
	v_fma_f64 v[16:17], v[159:160], s[4:5], v[34:35]
	v_fma_f64 v[118:119], v[18:19], s[6:7], v[60:61]
	v_fma_f64 v[34:35], v[159:160], s[6:7], v[34:35]
	v_fma_f64 v[60:61], v[18:19], s[4:5], v[60:61]
	;; [unrolled: 5-line block ×3, first 2 shown]
	v_add_f64 v[6:7], v[211:212], v[6:7]
	v_add_f64 v[52:53], v[217:218], v[52:53]
	v_fma_f64 v[120:121], v[215:216], s[4:5], v[30:31]
	v_fma_f64 v[139:140], v[10:11], s[6:7], v[80:81]
	v_fma_f64 v[30:31], v[215:216], s[6:7], v[30:31]
	v_fma_f64 v[80:81], v[10:11], s[4:5], v[80:81]
	v_add_f64 v[46:47], v[219:220], v[46:47]
	v_fma_f64 v[122:123], v[223:224], s[4:5], v[28:29]
	v_fma_f64 v[141:142], v[0:1], s[6:7], v[84:85]
	;; [unrolled: 1-line block ×4, first 2 shown]
	ds_write2_b64 v196, v[2:3], v[86:87] offset1:104
	ds_write_b64 v196, v[38:39] offset:1664
	ds_write2_b64 v197, v[20:21], v[98:99] offset1:104
	ds_write_b64 v197, v[44:45] offset:1664
	ds_write2_b64 v124, v[22:23], v[96:97] offset0:56 offset1:160
	ds_write_b64 v196, v[42:43] offset:4160
	ds_write2_b64 v175, v[12:13], v[50:51] offset0:56 offset1:160
	;; [unrolled: 2-line block ×6, first 2 shown]
	ds_write_b64 v244, v[28:29] offset:9152
	s_waitcnt lgkmcnt(0)
	s_barrier
	buffer_gl0_inv
	ds_read2_b64 v[0:3], v137 offset0:112 offset1:164
	ds_read2_b64 v[4:7], v138 offset0:88 offset1:140
	ds_read_b64 v[86:87], v196
	ds_read_b64 v[96:97], v197
	ds_read_b64 v[98:99], v198
	ds_read_b64 v[120:121], v125
	ds_read2_b64 v[8:11], v136 offset0:64 offset1:116
	ds_read2_b64 v[12:15], v136 offset0:168 offset1:220
	ds_read_b64 v[122:123], v128
	ds_read_b64 v[143:144], v129
	ds_read_b64 v[145:146], v130
	ds_read_b64 v[147:148], v131
	;; [unrolled: 6-line block ×3, first 2 shown]
	s_waitcnt lgkmcnt(0)
	s_barrier
	buffer_gl0_inv
	ds_write2_b64 v196, v[88:89], v[92:93] offset1:104
	ds_write_b64 v196, v[90:91] offset:1664
	ds_write2_b64 v197, v[94:95], v[112:113] offset1:104
	ds_write_b64 v197, v[24:25] offset:1664
	ds_write2_b64 v124, v[58:59], v[114:115] offset0:56 offset1:160
	ds_write_b64 v196, v[26:27] offset:4160
	ds_write2_b64 v175, v[56:57], v[116:117] offset0:56 offset1:160
	;; [unrolled: 2-line block ×6, first 2 shown]
	ds_write_b64 v244, v[84:85] offset:9152
	s_waitcnt lgkmcnt(0)
	s_barrier
	buffer_gl0_inv
	s_clause 0x2
	global_load_dwordx4 v[24:27], v[167:168], off offset:864
	global_load_dwordx4 v[28:31], v[63:64], off offset:864
	;; [unrolled: 1-line block ×3, first 2 shown]
	v_add_co_u32 v46, s0, 0x1000, v74
	v_add_co_ci_u32_e64 v47, s0, 0, v75, s0
	s_clause 0x2
	global_load_dwordx4 v[36:39], v[171:172], off offset:864
	global_load_dwordx4 v[42:45], v[173:174], off offset:864
	global_load_dwordx4 v[46:49], v[46:47], off offset:864
	ds_read2_b64 v[50:53], v137 offset0:112 offset1:164
	ds_read2_b64 v[54:57], v138 offset0:88 offset1:140
	ds_read_b64 v[84:85], v196
	ds_read_b64 v[88:89], v197
	ds_read_b64 v[90:91], v198
	ds_read_b64 v[92:93], v125
	ds_read2_b64 v[58:61], v136 offset0:64 offset1:116
	ds_read2_b64 v[62:65], v136 offset0:168 offset1:220
	ds_read_b64 v[94:95], v128
	ds_read_b64 v[112:113], v129
	ds_read_b64 v[114:115], v130
	ds_read_b64 v[116:117], v131
	;; [unrolled: 6-line block ×3, first 2 shown]
	s_waitcnt vmcnt(0) lgkmcnt(0)
	s_barrier
	buffer_gl0_inv
	v_mul_f64 v[157:158], v[50:51], v[26:27]
	v_mul_f64 v[161:162], v[52:53], v[30:31]
	;; [unrolled: 1-line block ×22, first 2 shown]
	v_fma_f64 v[0:1], v[0:1], v[24:25], -v[157:158]
	v_fma_f64 v[2:3], v[2:3], v[28:29], -v[161:162]
	;; [unrolled: 1-line block ×10, first 2 shown]
	v_mul_f64 v[44:45], v[20:21], v[44:45]
	v_fma_f64 v[20:21], v[20:21], v[42:43], -v[207:208]
	v_mul_f64 v[48:49], v[22:23], v[48:49]
	v_fma_f64 v[22:23], v[22:23], v[46:47], -v[209:210]
	v_fma_f64 v[50:51], v[50:51], v[24:25], v[159:160]
	v_fma_f64 v[52:53], v[52:53], v[28:29], v[163:164]
	;; [unrolled: 1-line block ×8, first 2 shown]
	v_add_f64 v[0:1], v[86:87], -v[0:1]
	v_add_f64 v[2:3], v[96:97], -v[2:3]
	;; [unrolled: 1-line block ×10, first 2 shown]
	v_fma_f64 v[28:29], v[76:77], v[32:33], v[34:35]
	v_add_f64 v[20:21], v[153:154], -v[20:21]
	v_fma_f64 v[32:33], v[80:81], v[42:43], v[44:45]
	v_add_f64 v[22:23], v[155:156], -v[22:23]
	v_fma_f64 v[34:35], v[82:83], v[46:47], v[48:49]
	v_fma_f64 v[30:31], v[78:79], v[36:37], v[38:39]
	v_add_f64 v[36:37], v[84:85], -v[50:51]
	v_add_f64 v[38:39], v[88:89], -v[52:53]
	;; [unrolled: 1-line block ×6, first 2 shown]
	v_fma_f64 v[42:43], v[86:87], 2.0, -v[0:1]
	v_fma_f64 v[44:45], v[96:97], 2.0, -v[2:3]
	;; [unrolled: 1-line block ×10, first 2 shown]
	v_add_f64 v[24:25], v[114:115], -v[24:25]
	v_fma_f64 v[62:63], v[153:154], 2.0, -v[20:21]
	v_add_f64 v[26:27], v[116:117], -v[26:27]
	v_fma_f64 v[64:65], v[155:156], 2.0, -v[22:23]
	ds_write_b64 v196, v[0:1] offset:2496
	ds_write_b64 v196, v[42:43]
	ds_write_b64 v197, v[44:45]
	ds_write_b64 v197, v[2:3] offset:2496
	ds_write_b64 v198, v[46:47]
	ds_write_b64 v198, v[4:5] offset:2496
	;; [unrolled: 2-line block ×5, first 2 shown]
	ds_write_b64 v196, v[54:55] offset:4992
	ds_write_b64 v196, v[12:13] offset:7488
	ds_write_b64 v197, v[56:57] offset:4992
	ds_write_b64 v197, v[14:15] offset:7488
	ds_write_b64 v198, v[58:59] offset:4992
	ds_write_b64 v198, v[16:17] offset:7488
	ds_write_b64 v125, v[60:61] offset:4992
	ds_write_b64 v125, v[18:19] offset:7488
	ds_write_b64 v128, v[62:63] offset:4992
	ds_write_b64 v128, v[20:21] offset:7488
	ds_write_b64 v129, v[64:65] offset:4992
	ds_write_b64 v129, v[22:23] offset:7488
	s_waitcnt lgkmcnt(0)
	s_barrier
	buffer_gl0_inv
	ds_read2_b64 v[0:3], v137 offset0:112 offset1:164
	ds_read2_b64 v[4:7], v138 offset0:88 offset1:140
	ds_read_b64 v[54:55], v196
	ds_read_b64 v[50:51], v197
	ds_read_b64 v[46:47], v198
	ds_read_b64 v[42:43], v125
	ds_read2_b64 v[16:19], v136 offset0:64 offset1:116
	ds_read2_b64 v[8:11], v136 offset0:168 offset1:220
	ds_read_b64 v[58:59], v128
	ds_read_b64 v[60:61], v129
	ds_read_b64 v[52:53], v130
	ds_read_b64 v[48:49], v131
	;; [unrolled: 6-line block ×3, first 2 shown]
	v_add_f64 v[28:29], v[118:119], -v[28:29]
	v_add_f64 v[30:31], v[126:127], -v[30:31]
	;; [unrolled: 1-line block ×4, first 2 shown]
	v_fma_f64 v[84:85], v[84:85], 2.0, -v[36:37]
	v_fma_f64 v[86:87], v[88:89], 2.0, -v[38:39]
	;; [unrolled: 1-line block ×8, first 2 shown]
	s_waitcnt lgkmcnt(0)
	s_barrier
	buffer_gl0_inv
	v_fma_f64 v[112:113], v[118:119], 2.0, -v[28:29]
	v_fma_f64 v[114:115], v[126:127], 2.0, -v[30:31]
	;; [unrolled: 1-line block ×4, first 2 shown]
	ds_write_b64 v196, v[84:85]
	ds_write_b64 v196, v[36:37] offset:2496
	ds_write_b64 v197, v[86:87]
	ds_write_b64 v197, v[38:39] offset:2496
	;; [unrolled: 2-line block ×6, first 2 shown]
	ds_write_b64 v196, v[96:97] offset:4992
	ds_write_b64 v196, v[24:25] offset:7488
	;; [unrolled: 1-line block ×12, first 2 shown]
	s_waitcnt lgkmcnt(0)
	s_barrier
	buffer_gl0_inv
	s_and_saveexec_b32 s0, vcc_lo
	s_cbranch_execz .LBB0_23
; %bb.22:
	v_mov_b32_e32 v112, v101
	v_mov_b32_e32 v110, v101
	;; [unrolled: 1-line block ×3, first 2 shown]
	v_mad_u64_u32 v[151:152], null, s2, v100, 0
	v_lshlrev_b64 v[24:25], 4, v[111:112]
	v_lshlrev_b64 v[26:27], 4, v[109:110]
	;; [unrolled: 1-line block ×3, first 2 shown]
	v_mov_b32_e32 v107, v101
	v_mad_u64_u32 v[153:154], null, s2, v186, 0
	v_add_co_u32 v24, vcc_lo, s8, v24
	v_add_co_ci_u32_e32 v25, vcc_lo, s9, v25, vcc_lo
	v_add_co_u32 v26, vcc_lo, s8, v26
	v_add_co_ci_u32_e32 v27, vcc_lo, s9, v27, vcc_lo
	v_add_co_u32 v24, vcc_lo, 0x2000, v24
	v_add_co_ci_u32_e32 v25, vcc_lo, 0, v25, vcc_lo
	v_add_co_u32 v26, vcc_lo, 0x2000, v26
	v_add_co_ci_u32_e32 v27, vcc_lo, 0, v27, vcc_lo
	v_add_co_u32 v34, vcc_lo, s8, v32
	v_add_co_ci_u32_e32 v35, vcc_lo, s9, v33, vcc_lo
	v_lshlrev_b64 v[32:33], 4, v[106:107]
	v_add_co_u32 v88, vcc_lo, 0x2000, v34
	v_add_co_ci_u32_e32 v89, vcc_lo, 0, v35, vcc_lo
	v_mov_b32_e32 v106, v101
	v_add_co_u32 v32, vcc_lo, s8, v32
	v_add_co_ci_u32_e32 v33, vcc_lo, s9, v33, vcc_lo
	s_clause 0x1
	global_load_dwordx4 v[28:31], v[24:25], off offset:1760
	global_load_dwordx4 v[24:27], v[26:27], off offset:1760
	v_add_co_u32 v92, vcc_lo, 0x2000, v32
	v_add_co_ci_u32_e32 v93, vcc_lo, 0, v33, vcc_lo
	v_lshlrev_b64 v[32:33], 4, v[105:106]
	v_add_co_u32 v34, vcc_lo, 0x2000, v74
	v_add_co_ci_u32_e32 v35, vcc_lo, 0, v75, vcc_lo
	v_add_co_u32 v36, vcc_lo, 0x2000, v72
	v_add_co_ci_u32_e32 v37, vcc_lo, 0, v73, vcc_lo
	;; [unrolled: 2-line block ×3, first 2 shown]
	v_add_co_u32 v70, vcc_lo, 0x2000, v70
	v_mov_b32_e32 v105, v101
	v_add_co_ci_u32_e32 v71, vcc_lo, 0, v71, vcc_lo
	v_add_co_u32 v68, vcc_lo, 0x2000, v68
	v_add_co_ci_u32_e32 v69, vcc_lo, 0, v69, vcc_lo
	v_lshlrev_b64 v[72:73], 4, v[104:105]
	v_add_co_u32 v66, vcc_lo, 0x2000, v66
	v_add_co_ci_u32_e32 v67, vcc_lo, 0, v67, vcc_lo
	v_add_co_u32 v40, vcc_lo, 0x2000, v40
	v_add_co_ci_u32_e32 v41, vcc_lo, 0, v41, vcc_lo
	;; [unrolled: 2-line block ×3, first 2 shown]
	s_clause 0x5
	global_load_dwordx4 v[32:35], v[34:35], off offset:1760
	global_load_dwordx4 v[36:39], v[36:37], off offset:1760
	global_load_dwordx4 v[72:75], v[70:71], off offset:1760
	global_load_dwordx4 v[76:79], v[68:69], off offset:1760
	global_load_dwordx4 v[80:83], v[66:67], off offset:1760
	global_load_dwordx4 v[84:87], v[40:41], off offset:1760
	v_add_co_u32 v40, vcc_lo, 0x2000, v94
	v_add_co_ci_u32_e32 v41, vcc_lo, 0, v95, vcc_lo
	v_add_co_u32 v66, vcc_lo, 0x2000, v90
	v_add_co_ci_u32_e32 v67, vcc_lo, 0, v91, vcc_lo
	s_clause 0x3
	global_load_dwordx4 v[88:91], v[88:89], off offset:1760
	global_load_dwordx4 v[92:95], v[92:93], off offset:1760
	;; [unrolled: 1-line block ×4, first 2 shown]
	ds_read_b64 v[135:136], v135
	ds_read_b64 v[68:69], v134
	;; [unrolled: 1-line block ×12, first 2 shown]
	s_clause 0x4
	buffer_load_dword v203, off, s[48:51], 0 offset:16
	buffer_load_dword v206, off, s[48:51], 0 offset:12
	;; [unrolled: 1-line block ×4, first 2 shown]
	buffer_load_dword v210, off, s[48:51], 0
	v_add_co_u32 v70, vcc_lo, s12, v102
	v_add_co_ci_u32_e32 v71, vcc_lo, s13, v103, vcc_lo
	v_lshrrev_b32_e32 v103, 4, v178
	v_mad_u64_u32 v[157:158], null, s2, v185, 0
	v_mad_u64_u32 v[161:162], null, s2, v183, 0
	;; [unrolled: 1-line block ×8, first 2 shown]
	v_mul_hi_u32 v209, 0x1a41a41b, v103
	v_mov_b32_e32 v103, v152
	v_mad_u64_u32 v[167:168], null, s2, v255, 0
	v_mad_u64_u32 v[101:102], null, s2, v195, 0
	v_mov_b32_e32 v134, v154
	v_mov_b32_e32 v154, v158
	;; [unrolled: 1-line block ×7, first 2 shown]
	v_add_nc_u32_e32 v112, 0x2000, v196
	v_mov_b32_e32 v152, v156
	v_mov_b32_e32 v156, v160
	v_add_nc_u32_e32 v120, 0x1800, v196
	v_add_nc_u32_e32 v124, 0x1400, v196
	v_add_nc_u32_e32 v128, 0x1000, v196
	v_mad_u64_u32 v[196:197], null, s2, v179, 0
	ds_read2_b64 v[108:111], v112 offset0:120 offset1:172
	ds_read2_b64 v[112:115], v112 offset0:16 offset1:68
	;; [unrolled: 1-line block ×6, first 2 shown]
	s_waitcnt vmcnt(4)
	v_mad_u64_u32 v[163:164], null, s2, v203, 0
	s_waitcnt vmcnt(3)
	v_mad_u64_u32 v[171:172], null, s2, v206, 0
	;; [unrolled: 2-line block ×3, first 2 shown]
	v_mad_u64_u32 v[187:188], null, s2, v207, 0
	v_mad_u64_u32 v[191:192], null, s2, v208, 0
	v_mov_b32_e32 v160, v164
	v_mov_b32_e32 v164, v168
	;; [unrolled: 1-line block ×3, first 2 shown]
	v_mad_u64_u32 v[199:200], null, s3, v100, v[103:104]
	v_mov_b32_e32 v168, v172
	s_waitcnt lgkmcnt(17)
	v_mad_u64_u32 v[200:201], null, s3, v186, v[134:135]
	v_mov_b32_e32 v172, v188
	v_mad_u64_u32 v[201:202], null, s3, v183, v[158:159]
	v_mad_u64_u32 v[202:203], null, s3, v203, v[160:161]
	;; [unrolled: 1-line block ×5, first 2 shown]
	v_mov_b32_e32 v152, v199
	v_mov_b32_e32 v175, v192
	v_mad_u64_u32 v[204:205], null, s3, v255, v[164:165]
	v_mad_u64_u32 v[205:206], null, s3, v206, v[168:169]
	v_mov_b32_e32 v188, v197
	v_mad_u64_u32 v[185:186], null, s3, v185, v[154:155]
	v_mad_u64_u32 v[192:193], null, s3, v193, v[156:157]
	;; [unrolled: 1-line block ×5, first 2 shown]
	v_lshrrev_b32_e32 v100, 2, v209
	v_lshlrev_b64 v[151:152], 4, v[151:152]
	v_mad_u64_u32 v[181:182], null, s3, v182, v[174:175]
	v_mad_u64_u32 v[207:208], null, s3, v208, v[175:176]
	v_mov_b32_e32 v154, v200
	v_mad_u64_u32 v[208:209], null, s3, v179, v[188:189]
	v_mad_u32_u24 v175, 0x270, v100, v178
	v_lshlrev_b64 v[100:101], 4, v[101:102]
	v_mov_b32_e32 v156, v194
	v_mov_b32_e32 v158, v185
	;; [unrolled: 1-line block ×11, first 2 shown]
	v_lshlrev_b64 v[102:103], 4, v[153:154]
	v_add_co_u32 v151, vcc_lo, v70, v151
	v_add_co_ci_u32_e32 v152, vcc_lo, v71, v152, vcc_lo
	v_mad_u64_u32 v[209:210], null, s3, v210, v[190:191]
	v_mov_b32_e32 v190, v181
	v_mov_b32_e32 v192, v207
	v_add_co_u32 v186, vcc_lo, v70, v100
	v_mov_b32_e32 v197, v208
	v_lshlrev_b64 v[153:154], 4, v[155:156]
	v_lshlrev_b64 v[155:156], 4, v[157:158]
	;; [unrolled: 1-line block ×11, first 2 shown]
	v_add_co_ci_u32_e32 v187, vcc_lo, v71, v101, vcc_lo
	v_add_co_u32 v188, vcc_lo, v70, v102
	v_lshlrev_b64 v[180:181], 4, v[189:190]
	v_lshlrev_b64 v[182:183], 4, v[191:192]
	v_add_co_ci_u32_e32 v189, vcc_lo, v71, v103, vcc_lo
	s_waitcnt lgkmcnt(2)
	v_mul_f64 v[100:101], v[32:33], v[122:123]
	v_mul_f64 v[102:103], v[34:35], v[122:123]
	;; [unrolled: 1-line block ×4, first 2 shown]
	s_waitcnt lgkmcnt(1)
	v_mul_f64 v[190:191], v[72:73], v[126:127]
	s_waitcnt lgkmcnt(0)
	v_mul_f64 v[194:195], v[84:85], v[128:129]
	v_mul_f64 v[128:129], v[86:87], v[128:129]
	v_lshlrev_b64 v[184:185], 4, v[196:197]
	v_mul_f64 v[196:197], v[80:81], v[130:131]
	v_mul_f64 v[130:131], v[82:83], v[130:131]
	;; [unrolled: 1-line block ×5, first 2 shown]
	v_mov_b32_e32 v199, v209
	v_mul_f64 v[204:205], v[88:89], v[114:115]
	v_mul_f64 v[208:209], v[96:97], v[116:117]
	;; [unrolled: 1-line block ×9, first 2 shown]
	v_fma_f64 v[34:35], v[18:19], v[34:35], v[100:101]
	v_fma_f64 v[18:19], v[18:19], v[32:33], -v[102:103]
	v_fma_f64 v[32:33], v[16:17], v[38:39], v[122:123]
	v_fma_f64 v[36:37], v[16:17], v[36:37], -v[120:121]
	v_fma_f64 v[38:39], v[6:7], v[74:75], v[190:191]
	v_fma_f64 v[16:17], v[0:1], v[86:87], v[194:195]
	v_fma_f64 v[74:75], v[0:1], v[84:85], -v[128:129]
	v_mul_f64 v[206:207], v[92:93], v[112:113]
	v_mul_f64 v[112:113], v[94:95], v[112:113]
	;; [unrolled: 1-line block ×3, first 2 shown]
	v_fma_f64 v[82:83], v[2:3], v[82:83], v[196:197]
	v_fma_f64 v[80:81], v[2:3], v[80:81], -v[130:131]
	v_fma_f64 v[78:79], v[4:5], v[78:79], v[192:193]
	v_fma_f64 v[4:5], v[4:5], v[76:77], -v[124:125]
	v_fma_f64 v[72:73], v[6:7], v[72:73], -v[126:127]
	v_fma_f64 v[86:87], v[14:15], v[90:91], v[204:205]
	v_fma_f64 v[90:91], v[8:9], v[98:99], v[208:209]
	v_fma_f64 v[96:97], v[8:9], v[96:97], -v[116:117]
	v_fma_f64 v[98:99], v[10:11], v[106:107], v[210:211]
	v_fma_f64 v[100:101], v[10:11], v[104:105], -v[118:119]
	v_fma_f64 v[28:29], v[22:23], v[28:29], -v[110:111]
	;; [unrolled: 1-line block ×3, first 2 shown]
	v_fma_f64 v[30:31], v[22:23], v[30:31], v[200:201]
	v_fma_f64 v[76:77], v[20:21], v[26:27], v[202:203]
	v_add_f64 v[0:1], v[60:61], -v[18:19]
	v_add_co_u32 v153, vcc_lo, v70, v153
	v_add_f64 v[10:11], v[149:150], -v[16:17]
	v_add_f64 v[8:9], v[54:55], -v[74:75]
	v_fma_f64 v[94:95], v[12:13], v[94:95], v[206:207]
	v_fma_f64 v[92:93], v[12:13], v[92:93], -v[112:113]
	v_fma_f64 v[88:89], v[14:15], v[88:89], -v[114:115]
	v_add_f64 v[14:15], v[147:148], -v[82:83]
	v_add_f64 v[12:13], v[50:51], -v[80:81]
	;; [unrolled: 1-line block ×6, first 2 shown]
	v_add_co_ci_u32_e32 v154, vcc_lo, v71, v154, vcc_lo
	v_add_f64 v[6:7], v[141:142], -v[32:33]
	v_add_f64 v[4:5], v[58:59], -v[36:37]
	v_add_co_u32 v155, vcc_lo, v70, v155
	v_add_f64 v[2:3], v[139:140], -v[34:35]
	v_add_co_ci_u32_e32 v156, vcc_lo, v71, v156, vcc_lo
	v_add_co_u32 v157, vcc_lo, v70, v157
	v_add_f64 v[34:35], v[137:138], -v[90:91]
	v_add_f64 v[32:33], v[52:53], -v[96:97]
	v_add_co_ci_u32_e32 v158, vcc_lo, v71, v158, vcc_lo
	v_add_f64 v[38:39], v[132:133], -v[98:99]
	v_add_f64 v[36:37], v[48:49], -v[100:101]
	v_add_co_u32 v159, vcc_lo, v70, v159
	v_add_co_ci_u32_e32 v160, vcc_lo, v71, v160, vcc_lo
	v_add_co_u32 v161, vcc_lo, v70, v161
	v_add_co_ci_u32_e32 v162, vcc_lo, v71, v162, vcc_lo
	v_add_co_u32 v163, vcc_lo, v70, v163
	v_add_f64 v[24:25], v[64:65], -v[28:29]
	v_add_f64 v[28:29], v[62:63], -v[84:85]
	;; [unrolled: 1-line block ×3, first 2 shown]
	v_fma_f64 v[86:87], v[149:150], 2.0, -v[10:11]
	v_fma_f64 v[84:85], v[54:55], 2.0, -v[8:9]
	v_add_co_ci_u32_e32 v164, vcc_lo, v71, v164, vcc_lo
	v_add_f64 v[26:27], v[135:136], -v[30:31]
	v_add_f64 v[30:31], v[68:69], -v[76:77]
	;; [unrolled: 1-line block ×4, first 2 shown]
	v_add_co_u32 v165, vcc_lo, v70, v165
	v_add_f64 v[72:73], v[56:57], -v[88:89]
	v_fma_f64 v[90:91], v[147:148], 2.0, -v[14:15]
	v_fma_f64 v[88:89], v[50:51], 2.0, -v[12:13]
	v_add_co_ci_u32_e32 v166, vcc_lo, v71, v166, vcc_lo
	v_fma_f64 v[94:95], v[145:146], 2.0, -v[18:19]
	v_fma_f64 v[92:93], v[46:47], 2.0, -v[16:17]
	v_add_co_u32 v167, vcc_lo, v70, v167
	v_fma_f64 v[98:99], v[143:144], 2.0, -v[22:23]
	v_fma_f64 v[96:97], v[42:43], 2.0, -v[20:21]
	v_add_co_ci_u32_e32 v168, vcc_lo, v71, v168, vcc_lo
	v_add_co_u32 v169, vcc_lo, v70, v169
	v_fma_f64 v[102:103], v[141:142], 2.0, -v[6:7]
	v_fma_f64 v[100:101], v[58:59], 2.0, -v[4:5]
	v_mad_u64_u32 v[178:179], null, s2, v175, 0
	v_add_co_ci_u32_e32 v170, vcc_lo, v71, v170, vcc_lo
	v_fma_f64 v[82:83], v[139:140], 2.0, -v[2:3]
	v_fma_f64 v[80:81], v[60:61], 2.0, -v[0:1]
	v_add_co_u32 v171, vcc_lo, v70, v171
	v_fma_f64 v[54:55], v[137:138], 2.0, -v[34:35]
	v_fma_f64 v[52:53], v[52:53], 2.0, -v[32:33]
	v_add_co_ci_u32_e32 v172, vcc_lo, v71, v172, vcc_lo
	v_add_co_u32 v173, vcc_lo, v70, v173
	v_fma_f64 v[60:61], v[132:133], 2.0, -v[38:39]
	v_fma_f64 v[58:59], v[48:49], 2.0, -v[36:37]
	v_add_co_ci_u32_e32 v174, vcc_lo, v71, v174, vcc_lo
	v_mov_b32_e32 v134, v179
	v_add_co_u32 v179, vcc_lo, v70, v180
	v_add_co_ci_u32_e32 v180, vcc_lo, v71, v181, vcc_lo
	v_add_co_u32 v181, vcc_lo, v70, v182
	v_add_co_ci_u32_e32 v182, vcc_lo, v71, v183, vcc_lo
	global_store_dwordx4 v[151:152], v[84:87], off
	global_store_dwordx4 v[186:187], v[8:11], off
	;; [unrolled: 1-line block ×16, first 2 shown]
	v_lshrrev_b32_e32 v4, 4, v177
	v_fma_f64 v[42:43], v[40:41], 2.0, -v[78:79]
	v_fma_f64 v[40:41], v[44:45], 2.0, -v[76:77]
	v_lshlrev_b64 v[2:3], 4, v[198:199]
	v_add_nc_u32_e32 v9, 0x270, v175
	v_mul_hi_u32 v6, 0x1a41a41b, v4
	v_add_co_u32 v0, vcc_lo, v70, v184
	v_lshrrev_b32_e32 v8, 4, v176
	v_mad_u64_u32 v[4:5], null, s3, v175, v[134:135]
	v_add_co_ci_u32_e32 v1, vcc_lo, v71, v185, vcc_lo
	v_lshrrev_b32_e32 v7, 2, v6
	v_add_co_u32 v2, vcc_lo, v70, v2
	v_mad_u64_u32 v[5:6], null, s2, v9, 0
	v_mad_u32_u24 v11, 0x270, v7, v177
	v_add_co_ci_u32_e32 v3, vcc_lo, v71, v3, vcc_lo
	v_mul_hi_u32 v10, 0x1a41a41b, v8
	v_fma_f64 v[48:49], v[64:65], 2.0, -v[24:25]
	v_fma_f64 v[64:65], v[68:69], 2.0, -v[30:31]
	;; [unrolled: 1-line block ×4, first 2 shown]
	v_mov_b32_e32 v179, v4
	global_store_dwordx4 v[0:1], v[40:43], off
	global_store_dwordx4 v[2:3], v[76:79], off
	v_add_nc_u32_e32 v13, 0x270, v11
	v_mad_u64_u32 v[3:4], null, s2, v11, 0
	v_mov_b32_e32 v2, v6
	v_lshrrev_b32_e32 v6, 2, v10
	v_mad_u64_u32 v[7:8], null, s2, v13, 0
	v_lshlrev_b64 v[0:1], 4, v[178:179]
	v_fma_f64 v[62:63], v[62:63], 2.0, -v[28:29]
	v_mad_u64_u32 v[9:10], null, s3, v9, v[2:3]
	v_mad_u32_u24 v16, 0x270, v6, v176
	v_mad_u64_u32 v[10:11], null, s3, v11, v[4:5]
	v_mov_b32_e32 v2, v8
	v_add_co_u32 v0, vcc_lo, v70, v0
	v_mad_u64_u32 v[11:12], null, s2, v16, 0
	v_add_nc_u32_e32 v17, 0x270, v16
	v_add_co_ci_u32_e32 v1, vcc_lo, v71, v1, vcc_lo
	v_mov_b32_e32 v6, v9
	v_mad_u64_u32 v[13:14], null, s3, v13, v[2:3]
	v_mad_u64_u32 v[14:15], null, s2, v17, 0
	global_store_dwordx4 v[0:1], v[66:69], off
	v_lshlrev_b64 v[1:2], 4, v[5:6]
	v_mov_b32_e32 v0, v12
	v_mov_b32_e32 v4, v10
	;; [unrolled: 1-line block ×3, first 2 shown]
	v_fma_f64 v[50:51], v[135:136], 2.0, -v[26:27]
	v_mad_u64_u32 v[5:6], null, s3, v16, v[0:1]
	v_mov_b32_e32 v0, v15
	v_add_co_u32 v1, vcc_lo, v70, v1
	v_lshlrev_b64 v[3:4], 4, v[3:4]
	v_lshlrev_b64 v[6:7], 4, v[7:8]
	v_add_co_ci_u32_e32 v2, vcc_lo, v71, v2, vcc_lo
	v_mad_u64_u32 v[9:10], null, s3, v17, v[0:1]
	v_mov_b32_e32 v12, v5
	v_add_co_u32 v3, vcc_lo, v70, v3
	v_add_co_ci_u32_e32 v4, vcc_lo, v71, v4, vcc_lo
	v_lshlrev_b64 v[10:11], 4, v[11:12]
	v_mov_b32_e32 v15, v9
	v_add_co_u32 v5, vcc_lo, v70, v6
	v_add_co_ci_u32_e32 v6, vcc_lo, v71, v7, vcc_lo
	v_lshlrev_b64 v[7:8], 4, v[14:15]
	v_add_co_u32 v9, vcc_lo, v70, v10
	v_add_co_ci_u32_e32 v10, vcc_lo, v71, v11, vcc_lo
	v_add_co_u32 v7, vcc_lo, v70, v7
	v_add_co_ci_u32_e32 v8, vcc_lo, v71, v8, vcc_lo
	global_store_dwordx4 v[1:2], v[72:75], off
	global_store_dwordx4 v[3:4], v[62:65], off
	global_store_dwordx4 v[5:6], v[28:31], off
	global_store_dwordx4 v[9:10], v[48:51], off
	global_store_dwordx4 v[7:8], v[24:27], off
.LBB0_23:
	s_endpgm
	.section	.rodata,"a",@progbits
	.p2align	6, 0x0
	.amdhsa_kernel fft_rtc_fwd_len1248_factors_2_2_13_2_3_2_2_wgs_52_tpt_52_halfLds_dp_ip_CI_sbrr_dirReg
		.amdhsa_group_segment_fixed_size 0
		.amdhsa_private_segment_fixed_size 24
		.amdhsa_kernarg_size 88
		.amdhsa_user_sgpr_count 6
		.amdhsa_user_sgpr_private_segment_buffer 1
		.amdhsa_user_sgpr_dispatch_ptr 0
		.amdhsa_user_sgpr_queue_ptr 0
		.amdhsa_user_sgpr_kernarg_segment_ptr 1
		.amdhsa_user_sgpr_dispatch_id 0
		.amdhsa_user_sgpr_flat_scratch_init 0
		.amdhsa_user_sgpr_private_segment_size 0
		.amdhsa_wavefront_size32 1
		.amdhsa_uses_dynamic_stack 0
		.amdhsa_system_sgpr_private_segment_wavefront_offset 1
		.amdhsa_system_sgpr_workgroup_id_x 1
		.amdhsa_system_sgpr_workgroup_id_y 0
		.amdhsa_system_sgpr_workgroup_id_z 0
		.amdhsa_system_sgpr_workgroup_info 0
		.amdhsa_system_vgpr_workitem_id 0
		.amdhsa_next_free_vgpr 256
		.amdhsa_next_free_sgpr 52
		.amdhsa_reserve_vcc 1
		.amdhsa_reserve_flat_scratch 0
		.amdhsa_float_round_mode_32 0
		.amdhsa_float_round_mode_16_64 0
		.amdhsa_float_denorm_mode_32 3
		.amdhsa_float_denorm_mode_16_64 3
		.amdhsa_dx10_clamp 1
		.amdhsa_ieee_mode 1
		.amdhsa_fp16_overflow 0
		.amdhsa_workgroup_processor_mode 1
		.amdhsa_memory_ordered 1
		.amdhsa_forward_progress 0
		.amdhsa_shared_vgpr_count 0
		.amdhsa_exception_fp_ieee_invalid_op 0
		.amdhsa_exception_fp_denorm_src 0
		.amdhsa_exception_fp_ieee_div_zero 0
		.amdhsa_exception_fp_ieee_overflow 0
		.amdhsa_exception_fp_ieee_underflow 0
		.amdhsa_exception_fp_ieee_inexact 0
		.amdhsa_exception_int_div_zero 0
	.end_amdhsa_kernel
	.text
.Lfunc_end0:
	.size	fft_rtc_fwd_len1248_factors_2_2_13_2_3_2_2_wgs_52_tpt_52_halfLds_dp_ip_CI_sbrr_dirReg, .Lfunc_end0-fft_rtc_fwd_len1248_factors_2_2_13_2_3_2_2_wgs_52_tpt_52_halfLds_dp_ip_CI_sbrr_dirReg
                                        ; -- End function
	.section	.AMDGPU.csdata,"",@progbits
; Kernel info:
; codeLenInByte = 23480
; NumSgprs: 54
; NumVgprs: 256
; ScratchSize: 24
; MemoryBound: 1
; FloatMode: 240
; IeeeMode: 1
; LDSByteSize: 0 bytes/workgroup (compile time only)
; SGPRBlocks: 6
; VGPRBlocks: 31
; NumSGPRsForWavesPerEU: 54
; NumVGPRsForWavesPerEU: 256
; Occupancy: 4
; WaveLimiterHint : 1
; COMPUTE_PGM_RSRC2:SCRATCH_EN: 1
; COMPUTE_PGM_RSRC2:USER_SGPR: 6
; COMPUTE_PGM_RSRC2:TRAP_HANDLER: 0
; COMPUTE_PGM_RSRC2:TGID_X_EN: 1
; COMPUTE_PGM_RSRC2:TGID_Y_EN: 0
; COMPUTE_PGM_RSRC2:TGID_Z_EN: 0
; COMPUTE_PGM_RSRC2:TIDIG_COMP_CNT: 0
	.text
	.p2alignl 6, 3214868480
	.fill 48, 4, 3214868480
	.type	__hip_cuid_96896a1654158395,@object ; @__hip_cuid_96896a1654158395
	.section	.bss,"aw",@nobits
	.globl	__hip_cuid_96896a1654158395
__hip_cuid_96896a1654158395:
	.byte	0                               ; 0x0
	.size	__hip_cuid_96896a1654158395, 1

	.ident	"AMD clang version 19.0.0git (https://github.com/RadeonOpenCompute/llvm-project roc-6.4.0 25133 c7fe45cf4b819c5991fe208aaa96edf142730f1d)"
	.section	".note.GNU-stack","",@progbits
	.addrsig
	.addrsig_sym __hip_cuid_96896a1654158395
	.amdgpu_metadata
---
amdhsa.kernels:
  - .args:
      - .actual_access:  read_only
        .address_space:  global
        .offset:         0
        .size:           8
        .value_kind:     global_buffer
      - .offset:         8
        .size:           8
        .value_kind:     by_value
      - .actual_access:  read_only
        .address_space:  global
        .offset:         16
        .size:           8
        .value_kind:     global_buffer
      - .actual_access:  read_only
        .address_space:  global
        .offset:         24
        .size:           8
        .value_kind:     global_buffer
      - .offset:         32
        .size:           8
        .value_kind:     by_value
      - .actual_access:  read_only
        .address_space:  global
        .offset:         40
        .size:           8
        .value_kind:     global_buffer
      - .actual_access:  read_only
        .address_space:  global
        .offset:         48
        .size:           8
        .value_kind:     global_buffer
      - .offset:         56
        .size:           4
        .value_kind:     by_value
      - .actual_access:  read_only
        .address_space:  global
        .offset:         64
        .size:           8
        .value_kind:     global_buffer
      - .actual_access:  read_only
        .address_space:  global
        .offset:         72
        .size:           8
        .value_kind:     global_buffer
      - .address_space:  global
        .offset:         80
        .size:           8
        .value_kind:     global_buffer
    .group_segment_fixed_size: 0
    .kernarg_segment_align: 8
    .kernarg_segment_size: 88
    .language:       OpenCL C
    .language_version:
      - 2
      - 0
    .max_flat_workgroup_size: 52
    .name:           fft_rtc_fwd_len1248_factors_2_2_13_2_3_2_2_wgs_52_tpt_52_halfLds_dp_ip_CI_sbrr_dirReg
    .private_segment_fixed_size: 24
    .sgpr_count:     54
    .sgpr_spill_count: 0
    .symbol:         fft_rtc_fwd_len1248_factors_2_2_13_2_3_2_2_wgs_52_tpt_52_halfLds_dp_ip_CI_sbrr_dirReg.kd
    .uniform_work_group_size: 1
    .uses_dynamic_stack: false
    .vgpr_count:     256
    .vgpr_spill_count: 5
    .wavefront_size: 32
    .workgroup_processor_mode: 1
amdhsa.target:   amdgcn-amd-amdhsa--gfx1030
amdhsa.version:
  - 1
  - 2
...

	.end_amdgpu_metadata
